;; amdgpu-corpus repo=ROCm/rocFFT kind=compiled arch=gfx1201 opt=O3
	.text
	.amdgcn_target "amdgcn-amd-amdhsa--gfx1201"
	.amdhsa_code_object_version 6
	.protected	fft_rtc_fwd_len2028_factors_13_4_3_13_wgs_156_tpt_156_dp_op_CI_CI_unitstride_sbrr_R2C_dirReg ; -- Begin function fft_rtc_fwd_len2028_factors_13_4_3_13_wgs_156_tpt_156_dp_op_CI_CI_unitstride_sbrr_R2C_dirReg
	.globl	fft_rtc_fwd_len2028_factors_13_4_3_13_wgs_156_tpt_156_dp_op_CI_CI_unitstride_sbrr_R2C_dirReg
	.p2align	8
	.type	fft_rtc_fwd_len2028_factors_13_4_3_13_wgs_156_tpt_156_dp_op_CI_CI_unitstride_sbrr_R2C_dirReg,@function
fft_rtc_fwd_len2028_factors_13_4_3_13_wgs_156_tpt_156_dp_op_CI_CI_unitstride_sbrr_R2C_dirReg: ; @fft_rtc_fwd_len2028_factors_13_4_3_13_wgs_156_tpt_156_dp_op_CI_CI_unitstride_sbrr_R2C_dirReg
; %bb.0:
	s_clause 0x2
	s_load_b128 s[8:11], s[0:1], 0x0
	s_load_b128 s[4:7], s[0:1], 0x58
	;; [unrolled: 1-line block ×3, first 2 shown]
	v_mul_u32_u24_e32 v1, 0x1a5, v0
	v_mov_b32_e32 v3, 0
	s_delay_alu instid0(VALU_DEP_2) | instskip(NEXT) | instid1(VALU_DEP_1)
	v_lshrrev_b32_e32 v1, 16, v1
	v_add_nc_u32_e32 v5, ttmp9, v1
	v_mov_b32_e32 v1, 0
	v_mov_b32_e32 v2, 0
	;; [unrolled: 1-line block ×3, first 2 shown]
	s_wait_kmcnt 0x0
	v_cmp_lt_u64_e64 s2, s[10:11], 2
	s_delay_alu instid0(VALU_DEP_1)
	s_and_b32 vcc_lo, exec_lo, s2
	s_cbranch_vccnz .LBB0_8
; %bb.1:
	s_load_b64 s[2:3], s[0:1], 0x10
	v_mov_b32_e32 v1, 0
	v_mov_b32_e32 v2, 0
	s_add_nc_u64 s[16:17], s[14:15], 8
	s_add_nc_u64 s[18:19], s[12:13], 8
	s_mov_b64 s[20:21], 1
	s_delay_alu instid0(VALU_DEP_1)
	v_dual_mov_b32 v65, v2 :: v_dual_mov_b32 v64, v1
	s_wait_kmcnt 0x0
	s_add_nc_u64 s[22:23], s[2:3], 8
	s_mov_b32 s3, 0
.LBB0_2:                                ; =>This Inner Loop Header: Depth=1
	s_load_b64 s[24:25], s[22:23], 0x0
                                        ; implicit-def: $vgpr68_vgpr69
	s_mov_b32 s2, exec_lo
	s_wait_kmcnt 0x0
	v_or_b32_e32 v4, s25, v6
	s_delay_alu instid0(VALU_DEP_1)
	v_cmpx_ne_u64_e32 0, v[3:4]
	s_wait_alu 0xfffe
	s_xor_b32 s26, exec_lo, s2
	s_cbranch_execz .LBB0_4
; %bb.3:                                ;   in Loop: Header=BB0_2 Depth=1
	s_cvt_f32_u32 s2, s24
	s_cvt_f32_u32 s27, s25
	s_sub_nc_u64 s[30:31], 0, s[24:25]
	s_wait_alu 0xfffe
	s_delay_alu instid0(SALU_CYCLE_1) | instskip(SKIP_1) | instid1(SALU_CYCLE_2)
	s_fmamk_f32 s2, s27, 0x4f800000, s2
	s_wait_alu 0xfffe
	v_s_rcp_f32 s2, s2
	s_delay_alu instid0(TRANS32_DEP_1) | instskip(SKIP_1) | instid1(SALU_CYCLE_2)
	s_mul_f32 s2, s2, 0x5f7ffffc
	s_wait_alu 0xfffe
	s_mul_f32 s27, s2, 0x2f800000
	s_wait_alu 0xfffe
	s_delay_alu instid0(SALU_CYCLE_2) | instskip(SKIP_1) | instid1(SALU_CYCLE_2)
	s_trunc_f32 s27, s27
	s_wait_alu 0xfffe
	s_fmamk_f32 s2, s27, 0xcf800000, s2
	s_cvt_u32_f32 s29, s27
	s_wait_alu 0xfffe
	s_delay_alu instid0(SALU_CYCLE_1) | instskip(SKIP_1) | instid1(SALU_CYCLE_2)
	s_cvt_u32_f32 s28, s2
	s_wait_alu 0xfffe
	s_mul_u64 s[34:35], s[30:31], s[28:29]
	s_wait_alu 0xfffe
	s_mul_hi_u32 s37, s28, s35
	s_mul_i32 s36, s28, s35
	s_mul_hi_u32 s2, s28, s34
	s_mul_i32 s33, s29, s34
	s_wait_alu 0xfffe
	s_add_nc_u64 s[36:37], s[2:3], s[36:37]
	s_mul_hi_u32 s27, s29, s34
	s_mul_hi_u32 s38, s29, s35
	s_add_co_u32 s2, s36, s33
	s_wait_alu 0xfffe
	s_add_co_ci_u32 s2, s37, s27
	s_mul_i32 s34, s29, s35
	s_add_co_ci_u32 s35, s38, 0
	s_wait_alu 0xfffe
	s_add_nc_u64 s[34:35], s[2:3], s[34:35]
	s_wait_alu 0xfffe
	v_add_co_u32 v4, s2, s28, s34
	s_delay_alu instid0(VALU_DEP_1) | instskip(SKIP_1) | instid1(VALU_DEP_1)
	s_cmp_lg_u32 s2, 0
	s_add_co_ci_u32 s29, s29, s35
	v_readfirstlane_b32 s28, v4
	s_wait_alu 0xfffe
	s_delay_alu instid0(VALU_DEP_1)
	s_mul_u64 s[30:31], s[30:31], s[28:29]
	s_wait_alu 0xfffe
	s_mul_hi_u32 s35, s28, s31
	s_mul_i32 s34, s28, s31
	s_mul_hi_u32 s2, s28, s30
	s_mul_i32 s33, s29, s30
	s_wait_alu 0xfffe
	s_add_nc_u64 s[34:35], s[2:3], s[34:35]
	s_mul_hi_u32 s27, s29, s30
	s_mul_hi_u32 s28, s29, s31
	s_wait_alu 0xfffe
	s_add_co_u32 s2, s34, s33
	s_add_co_ci_u32 s2, s35, s27
	s_mul_i32 s30, s29, s31
	s_add_co_ci_u32 s31, s28, 0
	s_wait_alu 0xfffe
	s_add_nc_u64 s[30:31], s[2:3], s[30:31]
	s_wait_alu 0xfffe
	v_add_co_u32 v4, s2, v4, s30
	s_delay_alu instid0(VALU_DEP_1) | instskip(SKIP_1) | instid1(VALU_DEP_1)
	s_cmp_lg_u32 s2, 0
	s_add_co_ci_u32 s2, s29, s31
	v_mul_hi_u32 v13, v5, v4
	s_wait_alu 0xfffe
	v_mad_co_u64_u32 v[7:8], null, v5, s2, 0
	v_mad_co_u64_u32 v[9:10], null, v6, v4, 0
	;; [unrolled: 1-line block ×3, first 2 shown]
	s_delay_alu instid0(VALU_DEP_3) | instskip(SKIP_1) | instid1(VALU_DEP_4)
	v_add_co_u32 v4, vcc_lo, v13, v7
	s_wait_alu 0xfffd
	v_add_co_ci_u32_e32 v7, vcc_lo, 0, v8, vcc_lo
	s_delay_alu instid0(VALU_DEP_2) | instskip(SKIP_1) | instid1(VALU_DEP_2)
	v_add_co_u32 v4, vcc_lo, v4, v9
	s_wait_alu 0xfffd
	v_add_co_ci_u32_e32 v4, vcc_lo, v7, v10, vcc_lo
	s_wait_alu 0xfffd
	v_add_co_ci_u32_e32 v7, vcc_lo, 0, v12, vcc_lo
	s_delay_alu instid0(VALU_DEP_2) | instskip(SKIP_1) | instid1(VALU_DEP_2)
	v_add_co_u32 v4, vcc_lo, v4, v11
	s_wait_alu 0xfffd
	v_add_co_ci_u32_e32 v9, vcc_lo, 0, v7, vcc_lo
	s_delay_alu instid0(VALU_DEP_2) | instskip(SKIP_1) | instid1(VALU_DEP_3)
	v_mul_lo_u32 v10, s25, v4
	v_mad_co_u64_u32 v[7:8], null, s24, v4, 0
	v_mul_lo_u32 v11, s24, v9
	s_delay_alu instid0(VALU_DEP_2) | instskip(NEXT) | instid1(VALU_DEP_2)
	v_sub_co_u32 v7, vcc_lo, v5, v7
	v_add3_u32 v8, v8, v11, v10
	s_delay_alu instid0(VALU_DEP_1) | instskip(SKIP_1) | instid1(VALU_DEP_1)
	v_sub_nc_u32_e32 v10, v6, v8
	s_wait_alu 0xfffd
	v_subrev_co_ci_u32_e64 v10, s2, s25, v10, vcc_lo
	v_add_co_u32 v11, s2, v4, 2
	s_wait_alu 0xf1ff
	v_add_co_ci_u32_e64 v12, s2, 0, v9, s2
	v_sub_co_u32 v13, s2, v7, s24
	v_sub_co_ci_u32_e32 v8, vcc_lo, v6, v8, vcc_lo
	s_wait_alu 0xf1ff
	v_subrev_co_ci_u32_e64 v10, s2, 0, v10, s2
	s_delay_alu instid0(VALU_DEP_3) | instskip(NEXT) | instid1(VALU_DEP_3)
	v_cmp_le_u32_e32 vcc_lo, s24, v13
	v_cmp_eq_u32_e64 s2, s25, v8
	s_wait_alu 0xfffd
	v_cndmask_b32_e64 v13, 0, -1, vcc_lo
	v_cmp_le_u32_e32 vcc_lo, s25, v10
	s_wait_alu 0xfffd
	v_cndmask_b32_e64 v14, 0, -1, vcc_lo
	v_cmp_le_u32_e32 vcc_lo, s24, v7
	;; [unrolled: 3-line block ×3, first 2 shown]
	s_wait_alu 0xfffd
	v_cndmask_b32_e64 v15, 0, -1, vcc_lo
	v_cmp_eq_u32_e32 vcc_lo, s25, v10
	s_wait_alu 0xf1ff
	s_delay_alu instid0(VALU_DEP_2)
	v_cndmask_b32_e64 v7, v15, v7, s2
	s_wait_alu 0xfffd
	v_cndmask_b32_e32 v10, v14, v13, vcc_lo
	v_add_co_u32 v13, vcc_lo, v4, 1
	s_wait_alu 0xfffd
	v_add_co_ci_u32_e32 v14, vcc_lo, 0, v9, vcc_lo
	s_delay_alu instid0(VALU_DEP_3) | instskip(SKIP_1) | instid1(VALU_DEP_2)
	v_cmp_ne_u32_e32 vcc_lo, 0, v10
	s_wait_alu 0xfffd
	v_cndmask_b32_e32 v8, v14, v12, vcc_lo
	v_cndmask_b32_e32 v10, v13, v11, vcc_lo
	v_cmp_ne_u32_e32 vcc_lo, 0, v7
	s_wait_alu 0xfffd
	s_delay_alu instid0(VALU_DEP_2)
	v_dual_cndmask_b32 v69, v9, v8 :: v_dual_cndmask_b32 v68, v4, v10
.LBB0_4:                                ;   in Loop: Header=BB0_2 Depth=1
	s_wait_alu 0xfffe
	s_and_not1_saveexec_b32 s2, s26
	s_cbranch_execz .LBB0_6
; %bb.5:                                ;   in Loop: Header=BB0_2 Depth=1
	v_cvt_f32_u32_e32 v4, s24
	s_sub_co_i32 s26, 0, s24
	v_mov_b32_e32 v69, v3
	s_delay_alu instid0(VALU_DEP_2) | instskip(NEXT) | instid1(TRANS32_DEP_1)
	v_rcp_iflag_f32_e32 v4, v4
	v_mul_f32_e32 v4, 0x4f7ffffe, v4
	s_delay_alu instid0(VALU_DEP_1) | instskip(SKIP_1) | instid1(VALU_DEP_1)
	v_cvt_u32_f32_e32 v4, v4
	s_wait_alu 0xfffe
	v_mul_lo_u32 v7, s26, v4
	s_delay_alu instid0(VALU_DEP_1) | instskip(NEXT) | instid1(VALU_DEP_1)
	v_mul_hi_u32 v7, v4, v7
	v_add_nc_u32_e32 v4, v4, v7
	s_delay_alu instid0(VALU_DEP_1) | instskip(NEXT) | instid1(VALU_DEP_1)
	v_mul_hi_u32 v4, v5, v4
	v_mul_lo_u32 v7, v4, s24
	v_add_nc_u32_e32 v8, 1, v4
	s_delay_alu instid0(VALU_DEP_2) | instskip(NEXT) | instid1(VALU_DEP_1)
	v_sub_nc_u32_e32 v7, v5, v7
	v_subrev_nc_u32_e32 v9, s24, v7
	v_cmp_le_u32_e32 vcc_lo, s24, v7
	s_wait_alu 0xfffd
	s_delay_alu instid0(VALU_DEP_2) | instskip(NEXT) | instid1(VALU_DEP_1)
	v_dual_cndmask_b32 v7, v7, v9 :: v_dual_cndmask_b32 v4, v4, v8
	v_cmp_le_u32_e32 vcc_lo, s24, v7
	s_delay_alu instid0(VALU_DEP_2) | instskip(SKIP_1) | instid1(VALU_DEP_1)
	v_add_nc_u32_e32 v8, 1, v4
	s_wait_alu 0xfffd
	v_cndmask_b32_e32 v68, v4, v8, vcc_lo
.LBB0_6:                                ;   in Loop: Header=BB0_2 Depth=1
	s_wait_alu 0xfffe
	s_or_b32 exec_lo, exec_lo, s2
	v_mul_lo_u32 v4, v69, s24
	s_delay_alu instid0(VALU_DEP_2)
	v_mul_lo_u32 v9, v68, s25
	s_load_b64 s[26:27], s[18:19], 0x0
	v_mad_co_u64_u32 v[7:8], null, v68, s24, 0
	s_load_b64 s[24:25], s[16:17], 0x0
	s_add_nc_u64 s[20:21], s[20:21], 1
	s_add_nc_u64 s[16:17], s[16:17], 8
	s_wait_alu 0xfffe
	v_cmp_ge_u64_e64 s2, s[20:21], s[10:11]
	s_add_nc_u64 s[18:19], s[18:19], 8
	s_add_nc_u64 s[22:23], s[22:23], 8
	v_add3_u32 v4, v8, v9, v4
	v_sub_co_u32 v5, vcc_lo, v5, v7
	s_wait_alu 0xfffd
	s_delay_alu instid0(VALU_DEP_2) | instskip(SKIP_2) | instid1(VALU_DEP_1)
	v_sub_co_ci_u32_e32 v4, vcc_lo, v6, v4, vcc_lo
	s_and_b32 vcc_lo, exec_lo, s2
	s_wait_kmcnt 0x0
	v_mul_lo_u32 v6, s26, v4
	v_mul_lo_u32 v7, s27, v5
	v_mad_co_u64_u32 v[1:2], null, s26, v5, v[1:2]
	v_mul_lo_u32 v4, s24, v4
	v_mul_lo_u32 v8, s25, v5
	v_mad_co_u64_u32 v[64:65], null, s24, v5, v[64:65]
	s_delay_alu instid0(VALU_DEP_4) | instskip(NEXT) | instid1(VALU_DEP_2)
	v_add3_u32 v2, v7, v2, v6
	v_add3_u32 v65, v8, v65, v4
	s_wait_alu 0xfffe
	s_cbranch_vccnz .LBB0_9
; %bb.7:                                ;   in Loop: Header=BB0_2 Depth=1
	v_dual_mov_b32 v5, v68 :: v_dual_mov_b32 v6, v69
	s_branch .LBB0_2
.LBB0_8:
	v_dual_mov_b32 v65, v2 :: v_dual_mov_b32 v64, v1
	v_dual_mov_b32 v69, v6 :: v_dual_mov_b32 v68, v5
.LBB0_9:
	s_load_b64 s[0:1], s[0:1], 0x28
	v_mul_hi_u32 v3, 0x1a41a42, v0
	s_lshl_b64 s[10:11], s[10:11], 3
                                        ; implicit-def: $vgpr66
                                        ; implicit-def: $vgpr71
                                        ; implicit-def: $vgpr73
                                        ; implicit-def: $vgpr70
	s_wait_kmcnt 0x0
	v_cmp_gt_u64_e32 vcc_lo, s[0:1], v[68:69]
	v_cmp_le_u64_e64 s0, s[0:1], v[68:69]
	s_delay_alu instid0(VALU_DEP_1)
	s_and_saveexec_b32 s1, s0
	s_wait_alu 0xfffe
	s_xor_b32 s0, exec_lo, s1
; %bb.10:
	v_mul_u32_u24_e32 v1, 0x9c, v3
                                        ; implicit-def: $vgpr3
	s_delay_alu instid0(VALU_DEP_1) | instskip(NEXT) | instid1(VALU_DEP_1)
	v_sub_nc_u32_e32 v66, v0, v1
                                        ; implicit-def: $vgpr0
                                        ; implicit-def: $vgpr1_vgpr2
	v_add_nc_u32_e32 v71, 0x9c, v66
	v_add_nc_u32_e32 v73, 0x138, v66
	;; [unrolled: 1-line block ×3, first 2 shown]
; %bb.11:
	s_wait_alu 0xfffe
	s_or_saveexec_b32 s1, s0
	s_add_nc_u64 s[2:3], s[14:15], s[10:11]
	s_wait_alu 0xfffe
	s_xor_b32 exec_lo, exec_lo, s1
	s_cbranch_execz .LBB0_13
; %bb.12:
	s_add_nc_u64 s[10:11], s[12:13], s[10:11]
	v_lshlrev_b64_e32 v[1:2], 4, v[1:2]
	s_load_b64 s[10:11], s[10:11], 0x0
	s_wait_kmcnt 0x0
	v_mul_lo_u32 v6, s11, v68
	v_mul_lo_u32 v7, s10, v69
	v_mad_co_u64_u32 v[4:5], null, s10, v68, 0
	s_delay_alu instid0(VALU_DEP_1) | instskip(SKIP_1) | instid1(VALU_DEP_2)
	v_add3_u32 v5, v5, v7, v6
	v_mul_u32_u24_e32 v6, 0x9c, v3
	v_lshlrev_b64_e32 v[3:4], 4, v[4:5]
	s_delay_alu instid0(VALU_DEP_2) | instskip(NEXT) | instid1(VALU_DEP_1)
	v_sub_nc_u32_e32 v66, v0, v6
	v_lshlrev_b32_e32 v52, 4, v66
	s_delay_alu instid0(VALU_DEP_3) | instskip(SKIP_1) | instid1(VALU_DEP_4)
	v_add_co_u32 v0, s0, s4, v3
	s_wait_alu 0xf1ff
	v_add_co_ci_u32_e64 v3, s0, s5, v4, s0
	v_add_nc_u32_e32 v71, 0x9c, v66
	s_delay_alu instid0(VALU_DEP_3) | instskip(SKIP_1) | instid1(VALU_DEP_3)
	v_add_co_u32 v0, s0, v0, v1
	s_wait_alu 0xf1ff
	v_add_co_ci_u32_e64 v1, s0, v3, v2, s0
	v_add_nc_u32_e32 v73, 0x138, v66
	s_delay_alu instid0(VALU_DEP_3) | instskip(SKIP_1) | instid1(VALU_DEP_3)
	v_add_co_u32 v48, s0, v0, v52
	s_wait_alu 0xf1ff
	v_add_co_ci_u32_e64 v49, s0, 0, v1, s0
	s_clause 0xc
	global_load_b128 v[0:3], v[48:49], off
	global_load_b128 v[4:7], v[48:49], off offset:2496
	global_load_b128 v[8:11], v[48:49], off offset:4992
	;; [unrolled: 1-line block ×12, first 2 shown]
	v_add_nc_u32_e32 v52, 0, v52
	v_add_nc_u32_e32 v70, 0x1d4, v66
	s_wait_loadcnt 0xc
	ds_store_b128 v52, v[0:3]
	s_wait_loadcnt 0xb
	ds_store_b128 v52, v[4:7] offset:2496
	s_wait_loadcnt 0xa
	ds_store_b128 v52, v[8:11] offset:4992
	;; [unrolled: 2-line block ×12, first 2 shown]
.LBB0_13:
	s_or_b32 exec_lo, exec_lo, s1
	v_lshl_add_u32 v86, v66, 4, 0
	s_load_b64 s[2:3], s[2:3], 0x0
	global_wb scope:SCOPE_SE
	s_wait_dscnt 0x0
	s_wait_kmcnt 0x0
	s_barrier_signal -1
	s_barrier_wait -1
	global_inv scope:SCOPE_SE
	ds_load_b128 v[4:7], v86
	ds_load_b128 v[24:27], v86 offset:2496
	ds_load_b128 v[32:35], v86 offset:4992
	ds_load_b128 v[28:31], v86 offset:7488
	s_mov_b32 s24, 0x42a4c3d2
	s_mov_b32 s26, 0x66966769
	;; [unrolled: 1-line block ×18, first 2 shown]
	s_wait_dscnt 0x2
	v_add_f64_e32 v[0:1], v[4:5], v[24:25]
	v_add_f64_e32 v[2:3], v[6:7], v[26:27]
	s_mov_b32 s1, 0x3fec55a7
	s_mov_b32 s5, 0x3fe22d96
	;; [unrolled: 1-line block ×9, first 2 shown]
	s_wait_alu 0xfffe
	s_mov_b32 s30, s26
	s_mov_b32 s39, 0x3fedeba7
	;; [unrolled: 1-line block ×7, first 2 shown]
	s_wait_dscnt 0x1
	s_delay_alu instid0(VALU_DEP_2) | instskip(NEXT) | instid1(VALU_DEP_2)
	v_add_f64_e32 v[16:17], v[0:1], v[32:33]
	v_add_f64_e32 v[18:19], v[2:3], v[34:35]
	ds_load_b128 v[0:3], v86 offset:29952
	ds_load_b128 v[12:15], v86 offset:24960
	;; [unrolled: 1-line block ×3, first 2 shown]
	s_wait_dscnt 0x1
	v_add_f64_e64 v[74:75], v[30:31], -v[14:15]
	v_add_f64_e64 v[44:45], v[26:27], -v[2:3]
	;; [unrolled: 1-line block ×3, first 2 shown]
	v_add_f64_e32 v[97:98], v[30:31], v[14:15]
	s_wait_dscnt 0x0
	v_add_f64_e64 v[60:61], v[34:35], -v[10:11]
	v_add_f64_e64 v[62:63], v[32:33], -v[8:9]
	v_add_f64_e32 v[87:88], v[24:25], v[0:1]
	v_add_f64_e32 v[89:90], v[26:27], v[2:3]
	v_add_f64_e64 v[76:77], v[28:29], -v[12:13]
	v_add_f64_e32 v[32:33], v[32:33], v[8:9]
	v_add_f64_e32 v[34:35], v[34:35], v[10:11]
	;; [unrolled: 1-line block ×5, first 2 shown]
	ds_load_b128 v[20:23], v86 offset:19968
	ds_load_b128 v[16:19], v86 offset:22464
	;; [unrolled: 1-line block ×6, first 2 shown]
	global_wb scope:SCOPE_SE
	s_wait_dscnt 0x0
	s_barrier_signal -1
	s_barrier_wait -1
	global_inv scope:SCOPE_SE
	v_add_f64_e64 v[78:79], v[42:43], -v[18:19]
	v_add_f64_e64 v[82:83], v[38:39], -v[22:23]
	;; [unrolled: 1-line block ×3, first 2 shown]
	v_add_f64_e32 v[99:100], v[36:37], v[20:21]
	v_add_f64_e32 v[30:31], v[38:39], v[22:23]
	v_mul_f64_e32 v[101:102], s[18:19], v[44:45]
	v_mul_f64_e32 v[103:104], s[24:25], v[44:45]
	;; [unrolled: 1-line block ×12, first 2 shown]
	v_add_f64_e32 v[46:47], v[46:47], v[40:41]
	v_add_f64_e32 v[48:49], v[48:49], v[42:43]
	v_add_f64_e64 v[93:94], v[52:53], -v[56:57]
	v_add_f64_e64 v[95:96], v[50:51], -v[54:55]
	v_add_f64_e32 v[26:27], v[50:51], v[54:55]
	v_add_f64_e32 v[24:25], v[52:53], v[56:57]
	v_mul_f64_e32 v[121:122], s[28:29], v[60:61]
	v_mul_f64_e32 v[123:124], s[28:29], v[62:63]
	;; [unrolled: 1-line block ×5, first 2 shown]
	s_mov_b32 s19, 0x3fddbe06
	s_wait_alu 0xfffe
	v_mul_f64_e32 v[163:164], s[30:31], v[60:61]
	v_mul_f64_e32 v[165:166], s[30:31], v[62:63]
	;; [unrolled: 1-line block ×6, first 2 shown]
	v_add_f64_e64 v[80:81], v[40:41], -v[16:17]
	v_mul_f64_e32 v[125:126], s[20:21], v[74:75]
	v_mul_f64_e32 v[127:128], s[20:21], v[76:77]
	;; [unrolled: 1-line block ×7, first 2 shown]
	v_fma_f64 v[207:208], v[87:88], s[0:1], -v[101:102]
	v_fma_f64 v[101:102], v[87:88], s[0:1], v[101:102]
	v_fma_f64 v[209:210], v[87:88], s[4:5], -v[103:104]
	v_mul_f64_e32 v[169:170], s[24:25], v[76:77]
	v_fma_f64 v[211:212], v[87:88], s[14:15], -v[109:110]
	v_fma_f64 v[109:110], v[87:88], s[14:15], v[109:110]
	v_fma_f64 v[213:214], v[87:88], s[16:17], -v[44:45]
	v_fma_f64 v[215:216], v[89:90], s[0:1], v[111:112]
	v_fma_f64 v[44:45], v[87:88], s[16:17], v[44:45]
	;; [unrolled: 1-line block ×5, first 2 shown]
	v_add_f64_e32 v[36:37], v[46:47], v[36:37]
	v_add_f64_e32 v[38:39], v[48:49], v[38:39]
	v_mul_f64_e32 v[46:47], s[34:35], v[62:63]
	v_mul_f64_e32 v[62:63], s[18:19], v[62:63]
	v_fma_f64 v[223:224], v[89:90], s[16:17], v[58:59]
	v_fma_f64 v[115:116], v[89:90], s[10:11], -v[115:116]
	v_fma_f64 v[117:118], v[89:90], s[12:13], -v[117:118]
	;; [unrolled: 1-line block ×4, first 2 shown]
	v_fma_f64 v[225:226], v[34:35], s[12:13], v[123:124]
	v_fma_f64 v[231:232], v[32:33], s[16:17], -v[137:138]
	v_fma_f64 v[233:234], v[34:35], s[16:17], v[139:140]
	v_fma_f64 v[239:240], v[32:33], s[14:15], -v[151:152]
	v_mul_f64_e32 v[181:182], s[22:23], v[76:77]
	v_mul_f64_e32 v[201:202], s[26:27], v[76:77]
	;; [unrolled: 1-line block ×3, first 2 shown]
	v_fma_f64 v[243:244], v[32:33], s[10:11], -v[163:164]
	v_fma_f64 v[245:246], v[34:35], s[10:11], v[165:166]
	v_fma_f64 v[251:252], v[91:92], s[14:15], -v[179:180]
	v_fma_f64 v[137:138], v[32:33], s[16:17], v[137:138]
	v_fma_f64 v[151:152], v[32:33], s[14:15], v[151:152]
	;; [unrolled: 1-line block ×3, first 2 shown]
	v_fma_f64 v[123:124], v[34:35], s[12:13], -v[123:124]
	v_fma_f64 v[139:140], v[34:35], s[16:17], -v[139:140]
	;; [unrolled: 1-line block ×3, first 2 shown]
	v_add_f64_e32 v[40:41], v[40:41], v[16:17]
	v_add_f64_e32 v[207:208], v[4:5], v[207:208]
	;; [unrolled: 1-line block ×9, first 2 shown]
	v_mul_f64_e32 v[129:130], s[34:35], v[78:79]
	v_add_f64_e32 v[217:218], v[6:7], v[217:218]
	v_add_f64_e32 v[219:220], v[6:7], v[219:220]
	;; [unrolled: 1-line block ×5, first 2 shown]
	v_fma_f64 v[50:51], v[87:88], s[4:5], v[103:104]
	v_fma_f64 v[52:53], v[87:88], s[10:11], -v[105:106]
	v_fma_f64 v[103:104], v[87:88], s[10:11], v[105:106]
	v_fma_f64 v[105:106], v[87:88], s[12:13], -v[107:108]
	;; [unrolled: 2-line block ×4, first 2 shown]
	v_fma_f64 v[89:90], v[32:33], s[12:13], -v[121:122]
	v_fma_f64 v[241:242], v[34:35], s[14:15], v[46:47]
	v_add_f64_e32 v[223:224], v[6:7], v[223:224]
	v_fma_f64 v[121:122], v[32:33], s[12:13], v[121:122]
	v_add_f64_e32 v[115:116], v[6:7], v[115:116]
	v_add_f64_e32 v[117:118], v[6:7], v[117:118]
	;; [unrolled: 1-line block ×3, first 2 shown]
	v_fma_f64 v[46:47], v[34:35], s[14:15], -v[46:47]
	v_mul_f64_e32 v[131:132], s[34:35], v[80:81]
	v_fma_f64 v[227:228], v[91:92], s[16:17], -v[125:126]
	v_fma_f64 v[229:230], v[97:98], s[16:17], v[127:128]
	v_mul_f64_e32 v[48:49], s[26:27], v[78:79]
	v_mul_f64_e32 v[153:154], s[26:27], v[80:81]
	;; [unrolled: 1-line block ×8, first 2 shown]
	v_fma_f64 v[235:236], v[91:92], s[12:13], -v[141:142]
	v_fma_f64 v[237:238], v[97:98], s[12:13], v[143:144]
	v_mul_f64_e32 v[78:79], s[18:19], v[78:79]
	v_mul_f64_e32 v[80:81], s[18:19], v[80:81]
	v_fma_f64 v[247:248], v[91:92], s[4:5], -v[167:168]
	v_fma_f64 v[125:126], v[91:92], s[16:17], v[125:126]
	v_add_f64_e32 v[217:218], v[233:234], v[217:218]
	v_fma_f64 v[141:142], v[91:92], s[12:13], v[141:142]
	v_fma_f64 v[167:168], v[91:92], s[4:5], v[167:168]
	v_add_f64_e32 v[36:37], v[36:37], v[54:55]
	v_add_f64_e32 v[38:39], v[38:39], v[56:57]
	v_fma_f64 v[56:57], v[32:33], s[4:5], -v[195:196]
	v_add_f64_e32 v[52:53], v[4:5], v[52:53]
	v_fma_f64 v[195:196], v[32:33], s[4:5], v[195:196]
	v_add_f64_e32 v[105:106], v[4:5], v[105:106]
	v_add_f64_e32 v[50:51], v[4:5], v[50:51]
	;; [unrolled: 1-line block ×9, first 2 shown]
	v_fma_f64 v[44:45], v[34:35], s[4:5], v[197:198]
	v_fma_f64 v[58:59], v[34:35], s[4:5], -v[197:198]
	v_add_f64_e32 v[89:90], v[89:90], v[209:210]
	v_fma_f64 v[197:198], v[91:92], s[10:11], -v[199:200]
	v_fma_f64 v[199:200], v[91:92], s[10:11], v[199:200]
	v_add_f64_e32 v[219:220], v[241:242], v[219:220]
	v_fma_f64 v[249:250], v[97:98], s[4:5], v[169:170]
	v_add_f64_e32 v[211:212], v[243:244], v[211:212]
	v_add_f64_e32 v[221:222], v[245:246], v[221:222]
	v_fma_f64 v[54:55], v[97:98], s[14:15], v[181:182]
	v_fma_f64 v[127:128], v[97:98], s[16:17], -v[127:128]
	v_fma_f64 v[143:144], v[97:98], s[12:13], -v[143:144]
	;; [unrolled: 1-line block ×4, first 2 shown]
	v_add_f64_e32 v[115:116], v[139:140], v[115:116]
	v_add_f64_e32 v[109:110], v[163:164], v[109:110]
	;; [unrolled: 1-line block ×4, first 2 shown]
	v_mul_f64_e32 v[133:134], s[30:31], v[82:83]
	v_mul_f64_e32 v[135:136], s[30:31], v[84:85]
	v_fma_f64 v[233:234], v[40:41], s[14:15], -v[129:130]
	v_mul_f64_e32 v[145:146], s[24:25], v[82:83]
	v_mul_f64_e32 v[147:148], s[24:25], v[84:85]
	v_add_f64_e32 v[217:218], v[237:238], v[217:218]
	v_add_f64_e32 v[20:21], v[36:37], v[20:21]
	;; [unrolled: 1-line block ×3, first 2 shown]
	v_fma_f64 v[36:37], v[32:33], s[0:1], -v[60:61]
	v_fma_f64 v[38:39], v[91:92], s[14:15], v[179:180]
	v_fma_f64 v[179:180], v[34:35], s[0:1], v[62:63]
	;; [unrolled: 1-line block ×3, first 2 shown]
	v_fma_f64 v[34:35], v[34:35], s[0:1], -v[62:63]
	v_fma_f64 v[62:63], v[91:92], s[0:1], -v[74:75]
	v_add_f64_e32 v[111:112], v[225:226], v[111:112]
	v_add_f64_e32 v[52:53], v[231:232], v[52:53]
	;; [unrolled: 1-line block ×3, first 2 shown]
	v_fma_f64 v[74:75], v[91:92], s[0:1], v[74:75]
	v_fma_f64 v[91:92], v[97:98], s[0:1], v[76:77]
	v_add_f64_e32 v[101:102], v[195:196], v[101:102]
	v_add_f64_e32 v[113:114], v[123:124], v[113:114]
	;; [unrolled: 1-line block ×4, first 2 shown]
	v_fma_f64 v[60:61], v[97:98], s[10:11], v[201:202]
	v_fma_f64 v[201:202], v[97:98], s[10:11], -v[201:202]
	v_add_f64_e32 v[58:59], v[58:59], v[87:88]
	v_fma_f64 v[76:77], v[97:98], s[0:1], -v[76:77]
	v_add_f64_e32 v[50:51], v[121:122], v[50:51]
	v_add_f64_e32 v[56:57], v[56:57], v[207:208]
	;; [unrolled: 1-line block ×3, first 2 shown]
	v_fma_f64 v[239:240], v[42:43], s[14:15], v[131:132]
	v_add_f64_e32 v[89:90], v[227:228], v[89:90]
	v_fma_f64 v[237:238], v[40:41], s[0:1], -v[78:79]
	v_mul_f64_e32 v[155:156], s[40:41], v[82:83]
	v_mul_f64_e32 v[157:158], s[40:41], v[84:85]
	v_fma_f64 v[215:216], v[40:41], s[10:11], -v[48:49]
	v_fma_f64 v[195:196], v[42:43], s[10:11], v[153:154]
	v_mul_f64_e32 v[187:188], s[28:29], v[82:83]
	v_mul_f64_e32 v[189:190], s[28:29], v[84:85]
	;; [unrolled: 1-line block ×6, first 2 shown]
	v_fma_f64 v[139:140], v[40:41], s[16:17], -v[171:172]
	v_fma_f64 v[151:152], v[42:43], s[16:17], v[173:174]
	v_add_f64_e32 v[211:212], v[247:248], v[211:212]
	v_add_f64_e32 v[36:37], v[36:37], v[213:214]
	v_fma_f64 v[129:130], v[40:41], s[14:15], v[129:130]
	v_add_f64_e32 v[179:180], v[179:180], v[223:224]
	v_add_f64_e32 v[4:5], v[32:33], v[4:5]
	v_add_f64_e32 v[6:7], v[34:35], v[6:7]
	v_fma_f64 v[32:33], v[40:41], s[4:5], -v[183:184]
	v_add_f64_e32 v[111:112], v[229:230], v[111:112]
	v_add_f64_e32 v[52:53], v[235:236], v[52:53]
	v_add_f64_e32 v[62:63], v[62:63], v[105:106]
	v_fma_f64 v[105:106], v[42:43], s[0:1], v[80:81]
	v_add_f64_e32 v[91:92], v[91:92], v[219:220]
	v_add_f64_e32 v[219:220], v[249:250], v[221:222]
	v_fma_f64 v[34:35], v[42:43], s[4:5], v[185:186]
	v_fma_f64 v[229:230], v[40:41], s[12:13], -v[203:204]
	v_fma_f64 v[203:204], v[40:41], s[12:13], v[203:204]
	v_fma_f64 v[48:49], v[40:41], s[10:11], v[48:49]
	;; [unrolled: 1-line block ×5, first 2 shown]
	v_fma_f64 v[205:206], v[42:43], s[12:13], -v[205:206]
	v_add_f64_e32 v[16:17], v[20:21], v[16:17]
	v_add_f64_e32 v[18:19], v[22:23], v[18:19]
	v_fma_f64 v[20:21], v[42:43], s[14:15], -v[131:132]
	v_fma_f64 v[22:23], v[42:43], s[10:11], -v[153:154]
	;; [unrolled: 1-line block ×4, first 2 shown]
	v_fma_f64 v[40:41], v[40:41], s[0:1], v[78:79]
	v_fma_f64 v[42:43], v[42:43], s[0:1], -v[80:81]
	v_add_f64_e32 v[78:79], v[199:200], v[101:102]
	v_add_f64_e32 v[80:81], v[127:128], v[113:114]
	;; [unrolled: 1-line block ×16, first 2 shown]
	v_mul_f64_e32 v[149:150], s[22:23], v[93:94]
	v_mul_f64_e32 v[28:29], s[22:23], v[95:96]
	;; [unrolled: 1-line block ×12, first 2 shown]
	v_fma_f64 v[241:242], v[99:100], s[10:11], -v[133:134]
	v_fma_f64 v[243:244], v[30:31], s[10:11], v[135:136]
	v_add_f64_e32 v[60:61], v[233:234], v[89:90]
	v_add_f64_e32 v[76:77], v[239:240], v[111:112]
	v_fma_f64 v[245:246], v[99:100], s[4:5], -v[145:146]
	v_fma_f64 v[213:214], v[30:31], s[4:5], v[147:148]
	v_add_f64_e32 v[52:53], v[237:238], v[52:53]
	v_add_f64_e32 v[89:90], v[105:106], v[217:218]
	;; [unrolled: 4-line block ×4, first 2 shown]
	v_fma_f64 v[117:118], v[99:100], s[12:13], -v[187:188]
	v_fma_f64 v[227:228], v[30:31], s[12:13], v[189:190]
	v_fma_f64 v[173:174], v[99:100], s[14:15], -v[97:98]
	v_fma_f64 v[97:98], v[99:100], s[14:15], v[97:98]
	v_add_f64_e32 v[32:33], v[32:33], v[36:37]
	v_fma_f64 v[38:39], v[99:100], s[4:5], v[145:146]
	v_add_f64_e32 v[34:35], v[34:35], v[54:55]
	v_add_f64_e32 v[12:13], v[16:17], v[12:13]
	;; [unrolled: 1-line block ×3, first 2 shown]
	v_fma_f64 v[16:17], v[99:100], s[16:17], v[155:156]
	v_fma_f64 v[18:19], v[99:100], s[12:13], v[187:188]
	v_fma_f64 v[125:126], v[30:31], s[4:5], -v[147:148]
	v_fma_f64 v[127:128], v[30:31], s[12:13], -v[189:190]
	v_fma_f64 v[82:83], v[99:100], s[0:1], v[82:83]
	v_fma_f64 v[84:85], v[30:31], s[0:1], -v[84:85]
	v_add_f64_e32 v[78:79], v[203:204], v[78:79]
	v_add_f64_e32 v[20:21], v[20:21], v[80:81]
	;; [unrolled: 1-line block ×9, first 2 shown]
	v_fma_f64 v[54:55], v[30:31], s[14:15], -v[209:210]
	v_fma_f64 v[119:120], v[30:31], s[10:11], -v[135:136]
	v_add_f64_e32 v[58:59], v[205:206], v[58:59]
	v_fma_f64 v[36:37], v[30:31], s[14:15], v[209:210]
	v_fma_f64 v[30:31], v[30:31], s[16:17], -v[157:158]
	v_add_f64_e32 v[22:23], v[22:23], v[46:47]
	v_fma_f64 v[133:134], v[99:100], s[10:11], v[133:134]
	v_add_f64_e32 v[50:51], v[129:130], v[50:51]
	v_add_f64_e32 v[56:57], v[229:230], v[56:57]
	;; [unrolled: 1-line block ×3, first 2 shown]
	v_fma_f64 v[99:100], v[26:27], s[0:1], -v[93:94]
	v_fma_f64 v[101:102], v[24:25], s[0:1], v[95:96]
	v_add_f64_e32 v[46:47], v[241:242], v[60:61]
	v_add_f64_e32 v[60:61], v[243:244], v[76:77]
	v_fma_f64 v[223:224], v[26:27], s[14:15], -v[149:150]
	v_fma_f64 v[207:208], v[24:25], s[14:15], v[28:29]
	v_add_f64_e32 v[52:53], v[245:246], v[52:53]
	v_add_f64_e32 v[76:77], v[213:214], v[89:90]
	;; [unrolled: 4-line block ×4, first 2 shown]
	v_add_f64_e32 v[32:33], v[117:118], v[32:33]
	v_add_f64_e32 v[34:35], v[227:228], v[34:35]
	v_fma_f64 v[107:108], v[26:27], s[10:11], -v[191:192]
	v_fma_f64 v[109:110], v[24:25], s[10:11], v[193:194]
	v_fma_f64 v[129:130], v[26:27], s[10:11], v[191:192]
	v_add_f64_e32 v[78:79], v[97:98], v[78:79]
	v_add_f64_e32 v[38:39], v[38:39], v[40:41]
	;; [unrolled: 1-line block ×8, first 2 shown]
	v_fma_f64 v[84:85], v[24:25], s[10:11], -v[193:194]
	v_fma_f64 v[117:118], v[26:27], s[4:5], v[159:160]
	v_fma_f64 v[121:122], v[26:27], s[12:13], v[175:176]
	v_add_f64_e32 v[54:55], v[54:55], v[58:59]
	v_add_f64_e32 v[58:59], v[119:120], v[20:21]
	v_fma_f64 v[119:120], v[24:25], s[12:13], -v[177:178]
	v_fma_f64 v[115:116], v[26:27], s[14:15], v[149:150]
	v_fma_f64 v[82:83], v[24:25], s[4:5], -v[161:162]
	v_add_f64_e32 v[30:31], v[30:31], v[22:23]
	v_fma_f64 v[125:126], v[24:25], s[14:15], -v[28:29]
	v_fma_f64 v[93:94], v[26:27], s[0:1], v[93:94]
	v_add_f64_e32 v[50:51], v[133:134], v[50:51]
	v_fma_f64 v[95:96], v[24:25], s[0:1], -v[95:96]
	v_add_f64_e32 v[103:104], v[12:13], v[8:9]
	v_add_f64_e32 v[105:106], v[14:15], v[10:11]
	v_fma_f64 v[113:114], v[26:27], s[16:17], v[225:226]
	v_fma_f64 v[127:128], v[24:25], s[16:17], -v[231:232]
	v_fma_f64 v[111:112], v[26:27], s[16:17], -v[225:226]
	v_add_f64_e32 v[56:57], v[173:174], v[56:57]
	v_fma_f64 v[131:132], v[24:25], s[16:17], v[231:232]
	v_add_f64_e32 v[133:134], v[36:37], v[44:45]
	v_add_f64_e32 v[4:5], v[99:100], v[46:47]
	;; [unrolled: 1-line block ×11, first 2 shown]
	v_mad_u32_u24 v52, 0xc0, v66, v86
	v_lshl_add_u32 v89, v71, 4, 0
	v_lshl_add_u32 v159, v73, 4, 0
	v_cmp_gt_u32_e64 s0, 39, v66
	v_lshl_add_u32 v158, v70, 4, 0
	v_add_f64_e32 v[44:45], v[129:130], v[74:75]
                                        ; implicit-def: $vgpr62_vgpr63
	v_add_f64_e32 v[46:47], v[84:85], v[80:81]
	v_add_f64_e32 v[36:37], v[117:118], v[40:41]
	v_add_f64_e32 v[40:41], v[121:122], v[42:43]
	v_add_f64_e32 v[42:43], v[119:120], v[48:49]
	v_add_f64_e32 v[32:33], v[115:116], v[38:39]
	v_add_f64_e32 v[38:39], v[82:83], v[30:31]
	v_add_f64_e32 v[34:35], v[125:126], v[97:98]
	v_add_f64_e32 v[28:29], v[93:94], v[50:51]
	v_add_f64_e32 v[30:31], v[95:96], v[58:59]
	v_add_f64_e32 v[16:17], v[103:104], v[0:1]
	v_add_f64_e32 v[18:19], v[105:106], v[2:3]
	v_add_f64_e32 v[0:1], v[113:114], v[78:79]
	v_add_f64_e32 v[2:3], v[127:128], v[54:55]
                                        ; implicit-def: $vgpr54_vgpr55
                                        ; implicit-def: $vgpr58_vgpr59
	v_add_f64_e32 v[48:49], v[111:112], v[56:57]
	v_add_f64_e32 v[50:51], v[131:132], v[133:134]
	ds_store_b128 v52, v[4:7] offset:32
	ds_store_b128 v52, v[8:11] offset:48
	;; [unrolled: 1-line block ×11, first 2 shown]
	ds_store_b128 v52, v[16:19]
	ds_store_b128 v52, v[48:51] offset:16
	global_wb scope:SCOPE_SE
	s_wait_dscnt 0x0
	s_barrier_signal -1
	s_barrier_wait -1
	global_inv scope:SCOPE_SE
	ds_load_b128 v[8:11], v86
	ds_load_b128 v[44:47], v86 offset:8112
	ds_load_b128 v[32:35], v86 offset:16224
	;; [unrolled: 1-line block ×3, first 2 shown]
	ds_load_b128 v[12:15], v89
	ds_load_b128 v[4:7], v159
	ds_load_b128 v[36:39], v86 offset:10608
	ds_load_b128 v[20:23], v86 offset:13104
	;; [unrolled: 1-line block ×6, first 2 shown]
	s_and_saveexec_b32 s1, s0
	s_cbranch_execz .LBB0_15
; %bb.14:
	ds_load_b128 v[52:55], v86 offset:15600
	ds_load_b128 v[56:59], v86 offset:23712
	ds_load_b128 v[0:3], v158
	ds_load_b128 v[60:63], v86 offset:31824
.LBB0_15:
	s_wait_alu 0xfffe
	s_or_b32 exec_lo, exec_lo, s1
	v_and_b32_e32 v67, 0xff, v66
	v_and_b32_e32 v72, 0xffff, v71
	;; [unrolled: 1-line block ×4, first 2 shown]
	s_delay_alu instid0(VALU_DEP_4) | instskip(NEXT) | instid1(VALU_DEP_4)
	v_mul_lo_u16 v67, 0x4f, v67
	v_mul_u32_u24_e32 v72, 0x4ec5, v72
	s_delay_alu instid0(VALU_DEP_4) | instskip(NEXT) | instid1(VALU_DEP_4)
	v_mul_u32_u24_e32 v75, 0x4ec5, v74
	v_mul_u32_u24_e32 v74, 0x4ec5, v76
	s_delay_alu instid0(VALU_DEP_4) | instskip(NEXT) | instid1(VALU_DEP_4)
	v_lshrrev_b16 v87, 10, v67
	v_lshrrev_b32_e32 v88, 18, v72
	s_delay_alu instid0(VALU_DEP_4) | instskip(NEXT) | instid1(VALU_DEP_4)
	v_lshrrev_b32_e32 v154, 18, v75
	v_lshrrev_b32_e32 v76, 18, v74
	s_delay_alu instid0(VALU_DEP_4) | instskip(NEXT) | instid1(VALU_DEP_4)
	v_mul_lo_u16 v77, v87, 13
	v_mul_lo_u16 v78, v88, 13
	s_delay_alu instid0(VALU_DEP_3) | instskip(NEXT) | instid1(VALU_DEP_3)
	v_mul_lo_u16 v79, v76, 13
	v_sub_nc_u16 v77, v66, v77
	s_delay_alu instid0(VALU_DEP_1) | instskip(NEXT) | instid1(VALU_DEP_4)
	v_and_b32_e32 v155, 0xff, v77
	v_sub_nc_u16 v77, v71, v78
	v_mul_lo_u16 v78, v154, 13
	s_delay_alu instid0(VALU_DEP_3) | instskip(NEXT) | instid1(VALU_DEP_3)
	v_mul_u32_u24_e32 v80, 3, v155
	v_and_b32_e32 v156, 0xffff, v77
	s_delay_alu instid0(VALU_DEP_3) | instskip(SKIP_1) | instid1(VALU_DEP_4)
	v_sub_nc_u16 v77, v73, v78
	v_sub_nc_u16 v78, v70, v79
	v_lshlrev_b32_e32 v90, 4, v80
	s_delay_alu instid0(VALU_DEP_4) | instskip(NEXT) | instid1(VALU_DEP_4)
	v_mul_u32_u24_e32 v91, 3, v156
	v_and_b32_e32 v157, 0xffff, v77
	s_delay_alu instid0(VALU_DEP_4)
	v_and_b32_e32 v77, 0xffff, v78
	s_clause 0x1
	global_load_b128 v[78:81], v90, s[8:9] offset:16
	global_load_b128 v[82:85], v90, s[8:9]
	v_lshlrev_b32_e32 v102, 4, v91
	v_mul_u32_u24_e32 v98, 3, v157
	v_mul_u32_u24_e32 v110, 3, v77
	s_clause 0x1
	global_load_b128 v[90:93], v90, s[8:9] offset:32
	global_load_b128 v[94:97], v102, s[8:9]
	v_lshlrev_b32_e32 v114, 4, v98
	v_lshlrev_b32_e32 v126, 4, v110
	s_clause 0x7
	global_load_b128 v[98:101], v102, s[8:9] offset:16
	global_load_b128 v[102:105], v102, s[8:9] offset:32
	global_load_b128 v[106:109], v114, s[8:9]
	global_load_b128 v[110:113], v114, s[8:9] offset:16
	global_load_b128 v[114:117], v114, s[8:9] offset:32
	global_load_b128 v[118:121], v126, s[8:9]
	global_load_b128 v[122:125], v126, s[8:9] offset:16
	global_load_b128 v[126:129], v126, s[8:9] offset:32
	global_wb scope:SCOPE_SE
	s_wait_loadcnt_dscnt 0x0
	s_barrier_signal -1
	s_barrier_wait -1
	global_inv scope:SCOPE_SE
	v_mul_f64_e32 v[132:133], v[34:35], v[80:81]
	v_mul_f64_e32 v[130:131], v[46:47], v[84:85]
	;; [unrolled: 1-line block ×24, first 2 shown]
	v_fma_f64 v[32:33], v[32:33], v[78:79], -v[132:133]
	v_fma_f64 v[44:45], v[44:45], v[82:83], -v[130:131]
	v_fma_f64 v[46:47], v[46:47], v[82:83], v[84:85]
	v_fma_f64 v[34:35], v[34:35], v[78:79], v[80:81]
	v_fma_f64 v[48:49], v[48:49], v[90:91], -v[134:135]
	v_fma_f64 v[50:51], v[50:51], v[90:91], v[92:93]
	v_fma_f64 v[36:37], v[36:37], v[94:95], -v[136:137]
	;; [unrolled: 2-line block ×10, first 2 shown]
	v_fma_f64 v[62:63], v[62:63], v[126:127], v[128:129]
	v_add_f64_e64 v[78:79], v[8:9], -v[32:33]
	v_add_f64_e64 v[80:81], v[10:11], -v[34:35]
	;; [unrolled: 1-line block ×16, first 2 shown]
	v_fma_f64 v[8:9], v[8:9], 2.0, -v[78:79]
	v_fma_f64 v[10:11], v[10:11], 2.0, -v[80:81]
	;; [unrolled: 1-line block ×4, first 2 shown]
	v_add_f64_e64 v[16:17], v[78:79], -v[34:35]
	v_add_f64_e32 v[18:19], v[80:81], v[32:33]
	v_fma_f64 v[60:61], v[12:13], 2.0, -v[48:49]
	v_fma_f64 v[62:63], v[14:15], 2.0, -v[50:51]
	;; [unrolled: 1-line block ×8, first 2 shown]
	v_add_f64_e64 v[20:21], v[48:49], -v[42:43]
	v_add_f64_e32 v[22:23], v[50:51], v[40:41]
	v_fma_f64 v[0:1], v[0:1], 2.0, -v[94:95]
	v_fma_f64 v[2:3], v[2:3], 2.0, -v[96:97]
	;; [unrolled: 1-line block ×4, first 2 shown]
	v_add_f64_e64 v[32:33], v[82:83], -v[92:93]
	v_add_f64_e32 v[34:35], v[84:85], v[90:91]
	v_add_f64_e64 v[24:25], v[8:9], -v[24:25]
	v_add_f64_e64 v[26:27], v[10:11], -v[26:27]
	v_fma_f64 v[40:41], v[78:79], 2.0, -v[16:17]
	v_fma_f64 v[42:43], v[80:81], 2.0, -v[18:19]
	v_and_b32_e32 v78, 0xffff, v87
	v_lshlrev_b32_e32 v81, 4, v155
	v_add_f64_e64 v[28:29], v[60:61], -v[12:13]
	v_add_f64_e64 v[30:31], v[62:63], -v[14:15]
	;; [unrolled: 1-line block ×3, first 2 shown]
	v_add_f64_e32 v[14:15], v[96:97], v[56:57]
	v_mul_u32_u24_e32 v78, 0x340, v78
	v_mul_u32_u24_e32 v79, 0x340, v88
	v_add_f64_e64 v[36:37], v[98:99], -v[4:5]
	v_add_f64_e64 v[38:39], v[100:101], -v[6:7]
	v_mul_u32_u24_e32 v80, 0x340, v154
	v_add3_u32 v78, 0, v78, v81
	v_add_f64_e64 v[4:5], v[0:1], -v[44:45]
	v_add_f64_e64 v[6:7], v[2:3], -v[46:47]
	v_fma_f64 v[44:45], v[48:49], 2.0, -v[20:21]
	v_fma_f64 v[46:47], v[50:51], 2.0, -v[22:23]
	;; [unrolled: 1-line block ×4, first 2 shown]
	v_lshlrev_b32_e32 v82, 4, v156
	v_lshlrev_b32_e32 v83, 4, v157
	s_delay_alu instid0(VALU_DEP_2) | instskip(NEXT) | instid1(VALU_DEP_2)
	v_add3_u32 v79, 0, v79, v82
	v_add3_u32 v80, 0, v80, v83
	v_fma_f64 v[48:49], v[8:9], 2.0, -v[24:25]
	v_fma_f64 v[50:51], v[10:11], 2.0, -v[26:27]
	v_fma_f64 v[52:53], v[60:61], 2.0, -v[28:29]
	v_fma_f64 v[54:55], v[62:63], 2.0, -v[30:31]
	v_fma_f64 v[8:9], v[94:95], 2.0, -v[12:13]
	v_fma_f64 v[10:11], v[96:97], 2.0, -v[14:15]
	v_fma_f64 v[60:61], v[98:99], 2.0, -v[36:37]
	v_fma_f64 v[62:63], v[100:101], 2.0, -v[38:39]
	ds_store_b128 v78, v[24:27] offset:416
	ds_store_b128 v78, v[16:19] offset:624
	ds_store_b128 v78, v[48:51]
	ds_store_b128 v78, v[40:43] offset:208
	ds_store_b128 v79, v[52:55]
	ds_store_b128 v79, v[44:47] offset:208
	ds_store_b128 v79, v[28:31] offset:416
	;; [unrolled: 1-line block ×3, first 2 shown]
	ds_store_b128 v80, v[60:63]
	ds_store_b128 v80, v[56:59] offset:208
	ds_store_b128 v80, v[36:39] offset:416
	;; [unrolled: 1-line block ×3, first 2 shown]
	v_fma_f64 v[0:1], v[0:1], 2.0, -v[4:5]
	v_fma_f64 v[2:3], v[2:3], 2.0, -v[6:7]
	s_and_saveexec_b32 s1, s0
	s_cbranch_execz .LBB0_17
; %bb.16:
	v_mul_lo_u16 v16, v76, 52
	v_lshlrev_b32_e32 v17, 4, v77
	s_delay_alu instid0(VALU_DEP_2) | instskip(NEXT) | instid1(VALU_DEP_1)
	v_and_b32_e32 v16, 0xffff, v16
	v_lshlrev_b32_e32 v16, 4, v16
	s_delay_alu instid0(VALU_DEP_1)
	v_add3_u32 v16, 0, v17, v16
	ds_store_b128 v16, v[0:3]
	ds_store_b128 v16, v[8:11] offset:208
	ds_store_b128 v16, v[4:7] offset:416
	;; [unrolled: 1-line block ×3, first 2 shown]
.LBB0_17:
	s_wait_alu 0xfffe
	s_or_b32 exec_lo, exec_lo, s1
	global_wb scope:SCOPE_SE
	s_wait_dscnt 0x0
	s_barrier_signal -1
	s_barrier_wait -1
	global_inv scope:SCOPE_SE
	ds_load_b128 v[16:19], v86
	ds_load_b128 v[40:43], v86 offset:10816
	ds_load_b128 v[32:35], v86 offset:13312
	ds_load_b128 v[28:31], v86 offset:15808
	ds_load_b128 v[52:55], v86 offset:24128
	ds_load_b128 v[36:39], v86 offset:26624
	ds_load_b128 v[20:23], v159
	ds_load_b128 v[12:15], v158
	ds_load_b128 v[56:59], v86 offset:21632
	ds_load_b128 v[44:47], v86 offset:18304
	ds_load_b128 v[24:27], v89
	ds_load_b128 v[48:51], v86 offset:29120
	v_cmp_gt_u32_e64 s0, 52, v66
	s_delay_alu instid0(VALU_DEP_1)
	s_and_saveexec_b32 s1, s0
	s_cbranch_execz .LBB0_19
; %bb.18:
	ds_load_b128 v[0:3], v86 offset:9984
	ds_load_b128 v[8:11], v86 offset:20800
	;; [unrolled: 1-line block ×3, first 2 shown]
.LBB0_19:
	s_wait_alu 0xfffe
	s_or_b32 exec_lo, exec_lo, s1
	v_lshrrev_b16 v67, 12, v67
	v_lshrrev_b32_e32 v72, 20, v72
	v_lshrrev_b32_e32 v87, 20, v75
	;; [unrolled: 1-line block ×3, first 2 shown]
	s_mov_b32 s4, 0xe8584caa
	v_mul_lo_u16 v60, v67, 52
	v_mul_lo_u16 v61, v72, 52
	;; [unrolled: 1-line block ×3, first 2 shown]
	s_mov_b32 s5, 0x3febb67a
	s_mov_b32 s11, 0xbfebb67a
	v_sub_nc_u16 v60, v66, v60
	v_sub_nc_u16 v61, v71, v61
	;; [unrolled: 1-line block ×3, first 2 shown]
	s_wait_alu 0xfffe
	s_mov_b32 s10, s4
	v_and_b32_e32 v122, 0xff, v60
	v_mul_lo_u16 v60, v88, 52
	v_and_b32_e32 v123, 0xffff, v61
	v_and_b32_e32 v124, 0xffff, v62
	s_delay_alu instid0(VALU_DEP_4) | instskip(NEXT) | instid1(VALU_DEP_4)
	v_lshlrev_b32_e32 v74, 5, v122
	v_sub_nc_u16 v78, v70, v60
	s_delay_alu instid0(VALU_DEP_4) | instskip(NEXT) | instid1(VALU_DEP_4)
	v_lshlrev_b32_e32 v82, 5, v123
	v_lshlrev_b32_e32 v94, 5, v124
	s_clause 0x1
	global_load_b128 v[60:63], v74, s[8:9] offset:624
	global_load_b128 v[74:77], v74, s[8:9] offset:640
	v_and_b32_e32 v125, 0xffff, v78
	s_clause 0x1
	global_load_b128 v[78:81], v82, s[8:9] offset:624
	global_load_b128 v[82:85], v82, s[8:9] offset:640
	v_lshlrev_b32_e32 v102, 5, v125
	s_clause 0x3
	global_load_b128 v[90:93], v94, s[8:9] offset:624
	global_load_b128 v[94:97], v94, s[8:9] offset:640
	global_load_b128 v[98:101], v102, s[8:9] offset:624
	global_load_b128 v[102:105], v102, s[8:9] offset:640
	global_wb scope:SCOPE_SE
	s_wait_loadcnt_dscnt 0x0
	s_barrier_signal -1
	s_barrier_wait -1
	global_inv scope:SCOPE_SE
	v_mul_f64_e32 v[106:107], v[42:43], v[62:63]
	v_mul_f64_e32 v[108:109], v[58:59], v[76:77]
	;; [unrolled: 1-line block ×16, first 2 shown]
	v_fma_f64 v[40:41], v[40:41], v[60:61], -v[106:107]
	v_fma_f64 v[56:57], v[56:57], v[74:75], -v[108:109]
	v_fma_f64 v[42:43], v[42:43], v[60:61], v[62:63]
	v_fma_f64 v[58:59], v[58:59], v[74:75], v[76:77]
	v_fma_f64 v[32:33], v[32:33], v[78:79], -v[110:111]
	v_fma_f64 v[52:53], v[52:53], v[82:83], -v[112:113]
	v_fma_f64 v[34:35], v[34:35], v[78:79], v[80:81]
	v_fma_f64 v[54:55], v[54:55], v[82:83], v[84:85]
	v_fma_f64 v[28:29], v[28:29], v[90:91], -v[114:115]
	v_fma_f64 v[36:37], v[36:37], v[94:95], -v[116:117]
	v_fma_f64 v[30:31], v[30:31], v[90:91], v[92:93]
	v_fma_f64 v[38:39], v[38:39], v[94:95], v[96:97]
	v_fma_f64 v[44:45], v[44:45], v[98:99], -v[118:119]
	v_fma_f64 v[48:49], v[48:49], v[102:103], -v[120:121]
	v_fma_f64 v[46:47], v[46:47], v[98:99], v[100:101]
	v_fma_f64 v[50:51], v[50:51], v[102:103], v[104:105]
	v_add_f64_e32 v[90:91], v[16:17], v[40:41]
	v_add_f64_e32 v[60:61], v[40:41], v[56:57]
	v_add_f64_e64 v[40:41], v[40:41], -v[56:57]
	v_add_f64_e32 v[62:63], v[42:43], v[58:59]
	v_add_f64_e64 v[92:93], v[42:43], -v[58:59]
	v_add_f64_e32 v[74:75], v[32:33], v[52:53]
	v_add_f64_e32 v[42:43], v[18:19], v[42:43]
	;; [unrolled: 1-line block ×11, first 2 shown]
	v_add_f64_e64 v[106:107], v[34:35], -v[54:55]
	v_add_f64_e64 v[108:109], v[32:33], -v[52:53]
	;; [unrolled: 1-line block ×4, first 2 shown]
	v_add_f64_e32 v[102:103], v[12:13], v[44:45]
	v_add_f64_e32 v[104:105], v[14:15], v[46:47]
	v_add_f64_e64 v[114:115], v[46:47], -v[50:51]
	v_add_f64_e64 v[116:117], v[44:45], -v[48:49]
	v_fma_f64 v[60:61], v[60:61], -0.5, v[16:17]
	v_fma_f64 v[62:63], v[62:63], -0.5, v[18:19]
	;; [unrolled: 1-line block ×4, first 2 shown]
	v_add_f64_e32 v[16:17], v[94:95], v[52:53]
	v_fma_f64 v[78:79], v[78:79], -0.5, v[20:21]
	v_add_f64_e32 v[18:19], v[96:97], v[54:55]
	v_fma_f64 v[80:81], v[80:81], -0.5, v[22:23]
	;; [unrolled: 2-line block ×4, first 2 shown]
	v_add_f64_e32 v[14:15], v[42:43], v[58:59]
	v_add_f64_e32 v[22:23], v[100:101], v[38:39]
	;; [unrolled: 1-line block ×4, first 2 shown]
	v_fma_f64 v[28:29], v[92:93], s[4:5], v[60:61]
	s_wait_alu 0xfffe
	v_fma_f64 v[32:33], v[92:93], s[10:11], v[60:61]
	v_fma_f64 v[30:31], v[40:41], s[10:11], v[62:63]
	;; [unrolled: 1-line block ×15, first 2 shown]
	v_and_b32_e32 v60, 0xffff, v67
	v_lshlrev_b32_e32 v67, 4, v122
	v_mul_u32_u24_e32 v61, 0x9c0, v72
	v_lshlrev_b32_e32 v72, 4, v123
	v_mul_u32_u24_e32 v62, 0x9c0, v87
	v_mul_u32_u24_e32 v60, 0x9c0, v60
	;; [unrolled: 1-line block ×3, first 2 shown]
	v_lshlrev_b32_e32 v74, 4, v124
	v_lshlrev_b32_e32 v75, 4, v125
	v_add3_u32 v61, 0, v61, v72
	v_add3_u32 v60, 0, v60, v67
	s_delay_alu instid0(VALU_DEP_4) | instskip(NEXT) | instid1(VALU_DEP_4)
	v_add3_u32 v62, 0, v62, v74
	v_add3_u32 v63, 0, v63, v75
	ds_store_b128 v60, v[12:15]
	ds_store_b128 v60, v[28:31] offset:832
	ds_store_b128 v60, v[32:35] offset:1664
	ds_store_b128 v61, v[16:19]
	ds_store_b128 v61, v[36:39] offset:832
	ds_store_b128 v61, v[40:43] offset:1664
	ds_store_b128 v62, v[20:23]
	ds_store_b128 v62, v[44:47] offset:832
	ds_store_b128 v62, v[48:51] offset:1664
	ds_store_b128 v63, v[24:27]
	ds_store_b128 v63, v[52:55] offset:832
	ds_store_b128 v63, v[56:59] offset:1664
	s_and_saveexec_b32 s1, s0
	s_cbranch_execz .LBB0_21
; %bb.20:
	v_add_nc_u32_e32 v12, 0x270, v66
	s_delay_alu instid0(VALU_DEP_1) | instskip(NEXT) | instid1(VALU_DEP_1)
	v_and_b32_e32 v13, 0xffff, v12
	v_mul_u32_u24_e32 v13, 0x4ec5, v13
	s_delay_alu instid0(VALU_DEP_1) | instskip(NEXT) | instid1(VALU_DEP_1)
	v_lshrrev_b32_e32 v13, 20, v13
	v_mul_lo_u16 v13, v13, 52
	s_delay_alu instid0(VALU_DEP_1) | instskip(NEXT) | instid1(VALU_DEP_1)
	v_sub_nc_u16 v12, v12, v13
	v_and_b32_e32 v24, 0xffff, v12
	s_delay_alu instid0(VALU_DEP_1)
	v_lshlrev_b32_e32 v16, 5, v24
	s_clause 0x1
	global_load_b128 v[12:15], v16, s[8:9] offset:624
	global_load_b128 v[16:19], v16, s[8:9] offset:640
	s_wait_loadcnt 0x1
	v_mul_f64_e32 v[20:21], v[8:9], v[14:15]
	s_wait_loadcnt 0x0
	v_mul_f64_e32 v[22:23], v[4:5], v[18:19]
	v_mul_f64_e32 v[14:15], v[10:11], v[14:15]
	;; [unrolled: 1-line block ×3, first 2 shown]
	s_delay_alu instid0(VALU_DEP_4) | instskip(NEXT) | instid1(VALU_DEP_4)
	v_fma_f64 v[10:11], v[10:11], v[12:13], v[20:21]
	v_fma_f64 v[6:7], v[6:7], v[16:17], v[22:23]
	s_delay_alu instid0(VALU_DEP_4) | instskip(NEXT) | instid1(VALU_DEP_4)
	v_fma_f64 v[8:9], v[8:9], v[12:13], -v[14:15]
	v_fma_f64 v[4:5], v[4:5], v[16:17], -v[18:19]
	s_delay_alu instid0(VALU_DEP_4) | instskip(NEXT) | instid1(VALU_DEP_4)
	v_add_f64_e32 v[18:19], v[2:3], v[10:11]
	v_add_f64_e32 v[12:13], v[10:11], v[6:7]
	v_add_f64_e64 v[20:21], v[10:11], -v[6:7]
	s_delay_alu instid0(VALU_DEP_4)
	v_add_f64_e32 v[14:15], v[8:9], v[4:5]
	v_add_f64_e64 v[16:17], v[8:9], -v[4:5]
	v_add_f64_e32 v[8:9], v[0:1], v[8:9]
	v_fma_f64 v[12:13], v[12:13], -0.5, v[2:3]
	v_add_f64_e32 v[2:3], v[18:19], v[6:7]
	v_fma_f64 v[14:15], v[14:15], -0.5, v[0:1]
	s_delay_alu instid0(VALU_DEP_4) | instskip(NEXT) | instid1(VALU_DEP_4)
	v_add_f64_e32 v[0:1], v[8:9], v[4:5]
	v_fma_f64 v[10:11], v[16:17], s[10:11], v[12:13]
	v_fma_f64 v[6:7], v[16:17], s[4:5], v[12:13]
	s_delay_alu instid0(VALU_DEP_4)
	v_fma_f64 v[8:9], v[20:21], s[4:5], v[14:15]
	v_fma_f64 v[4:5], v[20:21], s[10:11], v[14:15]
	v_lshl_add_u32 v12, v24, 4, 0
	ds_store_b128 v12, v[0:3] offset:29952
	ds_store_b128 v12, v[8:11] offset:30784
	;; [unrolled: 1-line block ×3, first 2 shown]
.LBB0_21:
	s_wait_alu 0xfffe
	s_or_b32 exec_lo, exec_lo, s1
	v_mul_u32_u24_e32 v0, 12, v66
	global_wb scope:SCOPE_SE
	s_wait_dscnt 0x0
	s_barrier_signal -1
	s_barrier_wait -1
	global_inv scope:SCOPE_SE
	v_lshlrev_b32_e32 v0, 4, v0
	s_mov_b32 s4, 0xebaa3ed8
	s_mov_b32 s34, 0x4bc48dbf
	;; [unrolled: 1-line block ×4, first 2 shown]
	s_clause 0xb
	global_load_b128 v[20:23], v0, s[8:9] offset:2288
	global_load_b128 v[24:27], v0, s[8:9] offset:2464
	;; [unrolled: 1-line block ×12, first 2 shown]
	ds_load_b128 v[54:57], v89
	ds_load_b128 v[58:61], v86 offset:29952
	scratch_store_b32 off, v159, off offset:4 ; 4-byte Folded Spill
	ds_load_b128 v[74:77], v159
	ds_load_b128 v[78:81], v86 offset:27456
	scratch_store_b32 off, v158, off        ; 4-byte Folded Spill
	ds_load_b128 v[82:85], v158
	ds_load_b128 v[90:93], v86 offset:24960
	ds_load_b128 v[94:97], v86 offset:22464
	;; [unrolled: 1-line block ×3, first 2 shown]
	ds_load_b128 v[0:3], v86
	ds_load_b128 v[102:105], v86 offset:12480
	ds_load_b128 v[106:109], v86 offset:14976
	ds_load_b128 v[110:113], v86 offset:17472
	ds_load_b128 v[114:117], v86 offset:19968
	s_mov_b32 s5, 0x3fbedb7d
	s_mov_b32 s35, 0xbfcea1e5
	;; [unrolled: 1-line block ×11, first 2 shown]
	s_wait_alu 0xfffe
	s_mov_b32 s40, s16
	s_mov_b32 s12, 0x1ea71119
	;; [unrolled: 1-line block ×15, first 2 shown]
	s_wait_loadcnt_dscnt 0xb0c
	v_mul_f64_e32 v[40:41], v[56:57], v[22:23]
	v_mul_f64_e32 v[22:23], v[54:55], v[22:23]
	s_wait_loadcnt_dscnt 0xa0b
	v_mul_f64_e32 v[62:63], v[58:59], v[26:27]
	s_wait_loadcnt_dscnt 0x90a
	v_mul_f64_e32 v[118:119], v[76:77], v[30:31]
	v_mul_f64_e32 v[30:31], v[74:75], v[30:31]
	s_wait_loadcnt_dscnt 0x809
	v_mul_f64_e32 v[120:121], v[78:79], v[34:35]
	s_wait_loadcnt_dscnt 0x607
	v_mul_f64_e32 v[126:127], v[90:91], v[44:45]
	v_mul_f64_e32 v[26:27], v[60:61], v[26:27]
	;; [unrolled: 1-line block ×5, first 2 shown]
	s_wait_loadcnt_dscnt 0x406
	v_mul_f64_e32 v[130:131], v[94:95], v[52:53]
	v_mul_f64_e32 v[52:53], v[96:97], v[52:53]
	s_wait_loadcnt_dscnt 0x202
	v_mul_f64_e32 v[136:137], v[108:109], v[14:15]
	v_mul_f64_e32 v[138:139], v[106:107], v[14:15]
	;; [unrolled: 3-line block ×3, first 2 shown]
	v_mul_f64_e32 v[128:129], v[98:99], v[48:49]
	v_mul_f64_e32 v[132:133], v[104:105], v[18:19]
	;; [unrolled: 1-line block ×3, first 2 shown]
	s_wait_dscnt 0x0
	v_mul_f64_e32 v[140:141], v[114:115], v[10:11]
	v_mul_f64_e32 v[142:143], v[116:117], v[10:11]
	;; [unrolled: 1-line block ×4, first 2 shown]
	v_fma_f64 v[148:149], v[54:55], v[20:21], -v[40:41]
	v_fma_f64 v[56:57], v[56:57], v[20:21], v[22:23]
	v_fma_f64 v[6:7], v[60:61], v[24:25], v[62:63]
	v_fma_f64 v[38:39], v[74:75], v[28:29], -v[118:119]
	v_fma_f64 v[40:41], v[76:77], v[28:29], v[30:31]
	v_fma_f64 v[14:15], v[80:81], v[32:33], v[120:121]
	v_fma_f64 v[20:21], v[92:93], v[42:43], v[126:127]
	v_fma_f64 v[10:11], v[58:59], v[24:25], -v[26:27]
	v_fma_f64 v[18:19], v[78:79], v[32:33], -v[34:35]
	v_fma_f64 v[32:33], v[84:85], v[36:37], v[124:125]
	v_fma_f64 v[22:23], v[90:91], v[42:43], -v[44:45]
	v_fma_f64 v[24:25], v[96:97], v[50:51], v[130:131]
	v_fma_f64 v[26:27], v[94:95], v[50:51], -v[52:53]
	v_fma_f64 v[44:45], v[108:109], v[12:13], v[138:139]
	v_fma_f64 v[28:29], v[100:101], v[46:47], v[128:129]
	v_fma_f64 v[54:55], v[102:103], v[16:17], -v[132:133]
	v_fma_f64 v[52:53], v[104:105], v[16:17], v[134:135]
	v_fma_f64 v[16:17], v[112:113], v[4:5], v[144:145]
	v_fma_f64 v[34:35], v[82:83], v[36:37], -v[122:123]
	v_fma_f64 v[30:31], v[98:99], v[46:47], -v[48:49]
	;; [unrolled: 1-line block ×3, first 2 shown]
	v_fma_f64 v[12:13], v[116:117], v[8:9], v[140:141]
	v_fma_f64 v[8:9], v[114:115], v[8:9], -v[142:143]
	v_fma_f64 v[36:37], v[110:111], v[4:5], -v[146:147]
	v_add_f64_e32 v[90:91], v[0:1], v[148:149]
	v_add_f64_e32 v[92:93], v[2:3], v[56:57]
	v_add_f64_e64 v[94:95], v[56:57], -v[6:7]
	v_add_f64_e32 v[74:75], v[56:57], v[6:7]
	scratch_store_b64 off, v[6:7], off offset:8 ; 8-byte Folded Spill
	v_add_f64_e64 v[80:81], v[40:41], -v[14:15]
	v_add_f64_e32 v[58:59], v[40:41], v[14:15]
	v_add_f64_e64 v[96:97], v[148:149], -v[10:11]
	v_add_f64_e32 v[62:63], v[148:149], v[10:11]
	;; [unrolled: 2-line block ×7, first 2 shown]
	v_add_f64_e32 v[4:5], v[30:31], v[26:27]
	v_add_f64_e64 v[76:77], v[30:31], -v[26:27]
	v_add_f64_e64 v[98:99], v[52:53], -v[12:13]
	v_add_f64_e32 v[106:107], v[54:55], v[8:9]
	v_add_f64_e32 v[108:109], v[52:53], v[12:13]
	;; [unrolled: 1-line block ×3, first 2 shown]
	v_add_f64_e64 v[100:101], v[54:55], -v[8:9]
	v_add_f64_e64 v[104:105], v[46:47], -v[36:37]
	v_add_f64_e32 v[38:39], v[90:91], v[38:39]
	v_add_f64_e32 v[40:41], v[92:93], v[40:41]
	v_mul_f64_e32 v[118:119], s[26:27], v[94:95]
	v_mul_f64_e32 v[90:91], s[14:15], v[94:95]
	;; [unrolled: 1-line block ×14, first 2 shown]
	s_wait_alu 0xfffe
	v_mul_f64_e32 v[158:159], s[40:41], v[84:85]
	s_mov_b32 s15, 0x3fddbe06
	v_mul_f64_e32 v[130:131], s[24:25], v[80:81]
	v_mul_f64_e32 v[134:135], s[16:17], v[80:81]
	;; [unrolled: 1-line block ×10, first 2 shown]
	s_wait_alu 0xfffe
	v_mul_f64_e32 v[80:81], s[14:15], v[80:81]
	v_mul_f64_e32 v[42:43], s[14:15], v[42:43]
	v_mul_f64_e32 v[194:195], s[24:25], v[98:99]
	v_mul_f64_e32 v[210:211], s[20:21], v[102:103]
	v_mul_f64_e32 v[136:137], s[16:17], v[78:79]
	v_mul_f64_e32 v[140:141], s[34:35], v[78:79]
	v_mul_f64_e32 v[144:145], s[38:39], v[78:79]
	v_mul_f64_e32 v[148:149], s[28:29], v[78:79]
	v_mul_f64_e32 v[78:79], s[14:15], v[78:79]
	v_mul_f64_e32 v[150:151], s[26:27], v[84:85]
	v_add_f64_e32 v[34:35], v[38:39], v[34:35]
	v_add_f64_e32 v[32:33], v[40:41], v[32:33]
	v_fma_f64 v[222:223], v[62:63], s[4:5], -v[118:119]
	v_fma_f64 v[214:215], v[62:63], s[0:1], -v[90:91]
	v_fma_f64 v[90:91], v[62:63], s[0:1], v[90:91]
	v_fma_f64 v[238:239], v[60:61], s[22:23], -v[138:139]
	v_fma_f64 v[218:219], v[62:63], s[12:13], -v[114:115]
	v_fma_f64 v[216:217], v[74:75], s[0:1], v[92:93]
	v_fma_f64 v[92:93], v[74:75], s[0:1], -v[92:93]
	v_fma_f64 v[220:221], v[74:75], s[12:13], v[116:117]
	v_fma_f64 v[114:115], v[62:63], s[12:13], v[114:115]
	v_fma_f64 v[116:117], v[74:75], s[12:13], -v[116:117]
	v_fma_f64 v[224:225], v[74:75], s[4:5], v[120:121]
	v_fma_f64 v[118:119], v[62:63], s[4:5], v[118:119]
	v_fma_f64 v[120:121], v[74:75], s[4:5], -v[120:121]
	v_fma_f64 v[226:227], v[62:63], s[10:11], -v[122:123]
	v_fma_f64 v[228:229], v[74:75], s[10:11], v[124:125]
	v_fma_f64 v[122:123], v[62:63], s[10:11], v[122:123]
	v_fma_f64 v[124:125], v[74:75], s[10:11], -v[124:125]
	;; [unrolled: 4-line block ×3, first 2 shown]
	v_mul_f64_e32 v[154:155], s[34:35], v[84:85]
	v_mul_f64_e32 v[156:157], s[34:35], v[82:83]
	v_fma_f64 v[234:235], v[60:61], s[10:11], -v[134:135]
	v_mul_f64_e32 v[160:161], s[40:41], v[82:83]
	v_mul_f64_e32 v[152:153], s[26:27], v[82:83]
	;; [unrolled: 1-line block ×6, first 2 shown]
	v_fma_f64 v[236:237], v[58:59], s[10:11], v[136:137]
	v_fma_f64 v[240:241], v[58:59], s[22:23], v[140:141]
	v_mul_f64_e32 v[82:83], s[14:15], v[82:83]
	v_fma_f64 v[242:243], v[60:61], s[18:19], -v[142:143]
	v_fma_f64 v[244:245], v[58:59], s[18:19], v[144:145]
	v_fma_f64 v[134:135], v[60:61], s[10:11], v[134:135]
	v_add_f64_e32 v[30:31], v[34:35], v[30:31]
	v_add_f64_e32 v[28:29], v[32:33], v[28:29]
	;; [unrolled: 1-line block ×3, first 2 shown]
	v_fma_f64 v[34:35], v[74:75], s[18:19], v[128:129]
	v_fma_f64 v[128:129], v[74:75], s[18:19], -v[128:129]
	v_fma_f64 v[32:33], v[62:63], s[22:23], -v[94:95]
	v_fma_f64 v[62:63], v[62:63], s[22:23], v[94:95]
	v_fma_f64 v[74:75], v[74:75], s[22:23], -v[96:97]
	v_fma_f64 v[96:97], v[58:59], s[12:13], v[132:133]
	v_add_f64_e32 v[216:217], v[2:3], v[216:217]
	v_add_f64_e32 v[214:215], v[0:1], v[214:215]
	;; [unrolled: 1-line block ×18, first 2 shown]
	v_fma_f64 v[94:95], v[60:61], s[12:13], -v[130:131]
	v_fma_f64 v[246:247], v[60:61], s[4:5], -v[146:147]
	v_fma_f64 v[248:249], v[58:59], s[4:5], v[148:149]
	v_fma_f64 v[130:131], v[60:61], s[12:13], v[130:131]
	;; [unrolled: 1-line block ×5, first 2 shown]
	v_fma_f64 v[132:133], v[58:59], s[12:13], -v[132:133]
	v_fma_f64 v[136:137], v[58:59], s[10:11], -v[136:137]
	;; [unrolled: 1-line block ×4, first 2 shown]
	v_add_f64_e32 v[30:31], v[30:31], v[54:55]
	v_add_f64_e32 v[28:29], v[28:29], v[52:53]
	;; [unrolled: 1-line block ×8, first 2 shown]
	v_fma_f64 v[62:63], v[56:57], s[18:19], -v[166:167]
	v_fma_f64 v[74:75], v[56:57], s[18:19], v[166:167]
	v_fma_f64 v[166:167], v[60:61], s[0:1], -v[80:81]
	v_add_f64_e32 v[96:97], v[96:97], v[216:217]
	v_fma_f64 v[216:217], v[4:5], s[0:1], -v[42:43]
	v_fma_f64 v[60:61], v[60:61], s[0:1], v[80:81]
	v_fma_f64 v[80:81], v[58:59], s[0:1], v[78:79]
	v_fma_f64 v[148:149], v[58:59], s[4:5], -v[148:149]
	v_fma_f64 v[58:59], v[58:59], s[0:1], -v[78:79]
	v_mul_f64_e32 v[180:181], s[16:17], v[76:77]
	v_mul_f64_e32 v[182:183], s[38:39], v[76:77]
	;; [unrolled: 1-line block ×5, first 2 shown]
	v_fma_f64 v[250:251], v[56:57], s[4:5], -v[150:151]
	v_fma_f64 v[254:255], v[56:57], s[22:23], -v[154:155]
	v_fma_f64 v[87:88], v[50:51], s[22:23], v[156:157]
	v_add_f64_e32 v[218:219], v[234:235], v[218:219]
	v_add_f64_e32 v[220:221], v[236:237], v[220:221]
	v_add_f64_e32 v[94:95], v[94:95], v[214:215]
	v_mul_f64_e32 v[76:77], s[14:15], v[76:77]
	v_fma_f64 v[54:55], v[50:51], s[10:11], v[160:161]
	v_add_f64_e32 v[224:225], v[240:241], v[224:225]
	v_fma_f64 v[78:79], v[56:57], s[0:1], -v[84:85]
	v_add_f64_e32 v[226:227], v[242:243], v[226:227]
	v_add_f64_e32 v[228:229], v[244:245], v[228:229]
	v_fma_f64 v[150:151], v[56:57], s[4:5], v[150:151]
	v_fma_f64 v[154:155], v[56:57], s[22:23], v[154:155]
	;; [unrolled: 1-line block ×3, first 2 shown]
	v_fma_f64 v[52:53], v[56:57], s[12:13], -v[162:163]
	v_add_f64_e32 v[30:31], v[30:31], v[46:47]
	v_add_f64_e32 v[28:29], v[28:29], v[44:45]
	;; [unrolled: 1-line block ×3, first 2 shown]
	v_fma_f64 v[44:45], v[50:51], s[0:1], v[82:83]
	v_fma_f64 v[162:163], v[56:57], s[12:13], v[162:163]
	;; [unrolled: 1-line block ×4, first 2 shown]
	v_add_f64_e32 v[114:115], v[134:135], v[114:115]
	v_add_f64_e32 v[230:231], v[246:247], v[230:231]
	;; [unrolled: 1-line block ×4, first 2 shown]
	v_fma_f64 v[166:167], v[106:107], s[12:13], -v[194:195]
	v_fma_f64 v[46:47], v[50:51], s[18:19], v[168:169]
	v_add_f64_e32 v[126:127], v[146:147], v[126:127]
	v_add_f64_e32 v[80:81], v[80:81], v[232:233]
	v_fma_f64 v[168:169], v[50:51], s[18:19], -v[168:169]
	v_add_f64_e32 v[0:1], v[60:61], v[0:1]
	v_add_f64_e32 v[2:3], v[58:59], v[2:3]
	v_fma_f64 v[164:165], v[50:51], s[12:13], -v[164:165]
	v_add_f64_e32 v[128:129], v[148:149], v[128:129]
	v_fma_f64 v[252:253], v[50:51], s[4:5], v[152:153]
	v_fma_f64 v[152:153], v[50:51], s[4:5], -v[152:153]
	v_fma_f64 v[156:157], v[50:51], s[22:23], -v[156:157]
	;; [unrolled: 1-line block ×4, first 2 shown]
	v_add_f64_e32 v[122:123], v[142:143], v[122:123]
	v_add_f64_e32 v[124:125], v[144:145], v[124:125]
	v_add_f64_e32 v[118:119], v[138:139], v[118:119]
	v_add_f64_e32 v[120:121], v[140:141], v[120:121]
	v_add_f64_e32 v[116:117], v[136:137], v[116:117]
	v_add_f64_e32 v[90:91], v[130:131], v[90:91]
	v_add_f64_e32 v[92:93], v[132:133], v[92:93]
	v_mul_f64_e32 v[40:41], s[28:29], v[98:99]
	v_mul_f64_e32 v[192:193], s[28:29], v[100:101]
	v_fma_f64 v[134:135], v[4:5], s[10:11], -v[170:171]
	v_fma_f64 v[170:171], v[4:5], s[10:11], v[170:171]
	v_fma_f64 v[238:239], v[4:5], s[18:19], -v[172:173]
	v_fma_f64 v[172:173], v[4:5], s[18:19], v[172:173]
	v_add_f64_e32 v[30:31], v[30:31], v[36:37]
	v_add_f64_e32 v[16:17], v[28:29], v[16:17]
	;; [unrolled: 1-line block ×3, first 2 shown]
	v_fma_f64 v[240:241], v[4:5], s[4:5], -v[174:175]
	v_fma_f64 v[174:175], v[4:5], s[4:5], v[174:175]
	v_fma_f64 v[138:139], v[4:5], s[22:23], -v[176:177]
	v_fma_f64 v[176:177], v[4:5], s[22:23], v[176:177]
	;; [unrolled: 2-line block ×3, first 2 shown]
	v_fma_f64 v[36:37], v[48:49], s[10:11], v[180:181]
	v_fma_f64 v[180:181], v[48:49], s[10:11], -v[180:181]
	v_fma_f64 v[28:29], v[48:49], s[18:19], v[182:183]
	v_fma_f64 v[182:183], v[48:49], s[18:19], -v[182:183]
	;; [unrolled: 2-line block ×5, first 2 shown]
	v_fma_f64 v[4:5], v[4:5], s[0:1], v[42:43]
	v_fma_f64 v[42:43], v[48:49], s[0:1], v[76:77]
	v_fma_f64 v[48:49], v[48:49], s[0:1], -v[76:77]
	v_add_f64_e32 v[76:77], v[250:251], v[94:95]
	v_add_f64_e32 v[94:95], v[254:255], v[218:219]
	;; [unrolled: 1-line block ×3, first 2 shown]
	v_mul_f64_e32 v[196:197], s[24:25], v[100:101]
	v_add_f64_e32 v[54:55], v[54:55], v[224:225]
	v_mul_f64_e32 v[198:199], s[36:37], v[98:99]
	v_mul_f64_e32 v[200:201], s[36:37], v[100:101]
	v_add_f64_e32 v[78:79], v[78:79], v[226:227]
	v_add_f64_e32 v[44:45], v[44:45], v[228:229]
	v_mul_f64_e32 v[188:189], s[20:21], v[98:99]
	v_mul_f64_e32 v[190:191], s[20:21], v[100:101]
	;; [unrolled: 1-line block ×6, first 2 shown]
	v_add_f64_e32 v[114:115], v[154:155], v[114:115]
	v_add_f64_e32 v[8:9], v[30:31], v[8:9]
	;; [unrolled: 1-line block ×20, first 2 shown]
	v_mul_f64_e32 v[206:207], s[34:35], v[102:103]
	v_mul_f64_e32 v[208:209], s[34:35], v[104:105]
	;; [unrolled: 1-line block ×11, first 2 shown]
	v_fma_f64 v[146:147], v[106:107], s[4:5], -v[40:41]
	v_fma_f64 v[148:149], v[108:109], s[4:5], v[192:193]
	v_add_f64_e32 v[94:95], v[238:239], v[94:95]
	v_add_f64_e32 v[28:29], v[28:29], v[87:88]
	v_fma_f64 v[232:233], v[108:109], s[12:13], v[196:197]
	v_add_f64_e32 v[42:43], v[42:43], v[54:55]
	v_fma_f64 v[60:61], v[106:107], s[22:23], -v[198:199]
	v_fma_f64 v[58:59], v[108:109], s[22:23], v[200:201]
	v_add_f64_e32 v[8:9], v[8:9], v[26:27]
	v_add_f64_e32 v[12:13], v[12:13], v[24:25]
	v_fma_f64 v[24:25], v[110:111], s[18:19], -v[210:211]
	v_add_f64_e32 v[54:55], v[240:241], v[78:79]
	v_add_f64_e32 v[44:45], v[244:245], v[44:45]
	v_fma_f64 v[40:41], v[106:107], s[4:5], v[40:41]
	v_fma_f64 v[128:129], v[106:107], s[0:1], -v[98:99]
	v_fma_f64 v[150:151], v[108:109], s[0:1], v[100:101]
	v_add_f64_e32 v[87:88], v[172:173], v[114:115]
	v_add_f64_e32 v[52:53], v[138:139], v[52:53]
	;; [unrolled: 1-line block ×3, first 2 shown]
	v_fma_f64 v[16:17], v[106:107], s[10:11], -v[202:203]
	v_fma_f64 v[30:31], v[108:109], s[10:11], v[204:205]
	v_fma_f64 v[98:99], v[106:107], s[0:1], v[98:99]
	v_add_f64_e32 v[78:79], v[176:177], v[84:85]
	v_add_f64_e32 v[32:33], v[242:243], v[32:33]
	;; [unrolled: 1-line block ×3, first 2 shown]
	v_fma_f64 v[136:137], v[106:107], s[10:11], v[202:203]
	v_fma_f64 v[140:141], v[108:109], s[10:11], -v[204:205]
	v_add_f64_e32 v[0:1], v[178:179], v[0:1]
	v_add_f64_e32 v[2:3], v[38:39], v[2:3]
	v_fma_f64 v[100:101], v[108:109], s[0:1], -v[100:101]
	v_add_f64_e32 v[38:39], v[186:187], v[62:63]
	v_fma_f64 v[198:199], v[106:107], s[22:23], v[198:199]
	v_fma_f64 v[200:201], v[108:109], s[22:23], -v[200:201]
	v_add_f64_e32 v[56:57], v[174:175], v[56:57]
	v_add_f64_e32 v[50:51], v[184:185], v[50:51]
	v_fma_f64 v[194:195], v[106:107], s[12:13], v[194:195]
	v_fma_f64 v[196:197], v[108:109], s[12:13], -v[196:197]
	v_add_f64_e32 v[4:5], v[4:5], v[118:119]
	v_add_f64_e32 v[48:49], v[48:49], v[74:75]
	v_fma_f64 v[192:193], v[108:109], s[4:5], -v[192:193]
	v_add_f64_e32 v[62:63], v[182:183], v[80:81]
	v_fma_f64 v[246:247], v[106:107], s[18:19], -v[188:189]
	v_fma_f64 v[248:249], v[108:109], s[18:19], v[190:191]
	v_fma_f64 v[188:189], v[106:107], s[18:19], v[188:189]
	v_fma_f64 v[190:191], v[108:109], s[18:19], -v[190:191]
	v_add_f64_e32 v[90:91], v[170:171], v[90:91]
	v_add_f64_e32 v[92:93], v[180:181], v[92:93]
	;; [unrolled: 1-line block ×4, first 2 shown]
	scratch_load_b64 v[6:7], off, off offset:8 th:TH_LOAD_LU ; 8-byte Folded Reload
	v_add_f64_e32 v[36:37], v[36:37], v[96:97]
	v_add_f64_e32 v[8:9], v[8:9], v[22:23]
	v_add_f64_e32 v[12:13], v[12:13], v[20:21]
	v_fma_f64 v[20:21], v[110:111], s[0:1], -v[102:103]
	v_fma_f64 v[118:119], v[112:113], s[0:1], v[104:105]
	v_add_f64_e32 v[94:95], v[146:147], v[94:95]
	v_add_f64_e32 v[28:29], v[148:149], v[28:29]
	v_fma_f64 v[26:27], v[112:113], s[18:19], v[212:213]
	v_add_f64_e32 v[42:43], v[232:233], v[42:43]
	v_fma_f64 v[122:123], v[110:111], s[12:13], -v[82:83]
	v_fma_f64 v[124:125], v[112:113], s[12:13], v[214:215]
	v_add_f64_e32 v[54:55], v[60:61], v[54:55]
	v_add_f64_e32 v[44:45], v[58:59], v[44:45]
	v_fma_f64 v[22:23], v[110:111], s[10:11], -v[130:131]
	v_fma_f64 v[74:75], v[112:113], s[10:11], v[132:133]
	v_fma_f64 v[102:103], v[110:111], s[0:1], v[102:103]
	v_add_f64_e32 v[40:41], v[40:41], v[87:88]
	v_add_f64_e32 v[52:53], v[128:129], v[52:53]
	;; [unrolled: 1-line block ×3, first 2 shown]
	v_fma_f64 v[96:97], v[110:111], s[4:5], -v[234:235]
	v_fma_f64 v[106:107], v[112:113], s[4:5], v[236:237]
	v_add_f64_e32 v[60:61], v[98:99], v[78:79]
	v_add_f64_e32 v[78:79], v[16:17], v[32:33]
	;; [unrolled: 1-line block ×3, first 2 shown]
	v_fma_f64 v[108:109], v[110:111], s[4:5], v[234:235]
	v_fma_f64 v[114:115], v[112:113], s[4:5], -v[236:237]
	v_add_f64_e32 v[46:47], v[136:137], v[0:1]
	v_add_f64_e32 v[2:3], v[140:141], v[2:3]
	v_fma_f64 v[80:81], v[110:111], s[10:11], v[130:131]
	v_fma_f64 v[84:85], v[112:113], s[10:11], -v[132:133]
	v_add_f64_e32 v[38:39], v[100:101], v[38:39]
	v_fma_f64 v[82:83], v[110:111], s[12:13], v[82:83]
	v_fma_f64 v[126:127], v[112:113], s[12:13], -v[214:215]
	v_add_f64_e32 v[56:57], v[198:199], v[56:57]
	v_add_f64_e32 v[87:88], v[200:201], v[50:51]
	v_fma_f64 v[116:117], v[110:111], s[18:19], v[210:211]
	v_fma_f64 v[120:121], v[112:113], s[18:19], -v[212:213]
	v_add_f64_e32 v[4:5], v[194:195], v[4:5]
	v_add_f64_e32 v[98:99], v[196:197], v[48:49]
	v_fma_f64 v[104:105], v[112:113], s[0:1], -v[104:105]
	v_add_f64_e32 v[62:63], v[192:193], v[62:63]
	v_fma_f64 v[202:203], v[110:111], s[22:23], -v[206:207]
	v_fma_f64 v[204:205], v[112:113], s[22:23], v[208:209]
	v_fma_f64 v[206:207], v[110:111], s[22:23], v[206:207]
	v_fma_f64 v[208:209], v[112:113], s[22:23], -v[208:209]
	v_add_f64_e32 v[90:91], v[188:189], v[90:91]
	v_add_f64_e32 v[92:93], v[190:191], v[92:93]
	;; [unrolled: 1-line block ×14, first 2 shown]
	global_wb scope:SCOPE_SE
	s_wait_loadcnt 0x0
	s_wait_storecnt 0x0
	v_add_f64_e32 v[48:49], v[96:97], v[78:79]
	v_add_f64_e32 v[50:51], v[106:107], v[30:31]
	s_barrier_signal -1
	s_barrier_wait -1
	v_add_f64_e32 v[52:53], v[108:109], v[46:47]
	v_add_f64_e32 v[54:55], v[114:115], v[2:3]
	;; [unrolled: 1-line block ×3, first 2 shown]
	global_inv scope:SCOPE_SE
	v_add_f64_e32 v[46:47], v[84:85], v[38:39]
	s_mov_b32 s1, exec_lo
	v_add_f64_e32 v[36:37], v[82:83], v[56:57]
	v_add_f64_e32 v[38:39], v[126:127], v[87:88]
	v_add_f64_e32 v[28:29], v[116:117], v[4:5]
	v_add_f64_e32 v[30:31], v[120:121], v[98:99]
	v_add_f64_e32 v[22:23], v[104:105], v[62:63]
	v_add_f64_e32 v[12:13], v[206:207], v[90:91]
	v_add_f64_e32 v[14:15], v[208:209], v[92:93]
	v_add_f64_e32 v[0:1], v[202:203], v[76:77]
	v_add_f64_e32 v[2:3], v[204:205], v[100:101]
	v_add_f64_e32 v[4:5], v[8:9], v[10:11]
                                        ; implicit-def: $vgpr10_vgpr11
                                        ; implicit-def: $vgpr8_vgpr9
	v_add_f64_e32 v[6:7], v[110:111], v[6:7]
	ds_store_b128 v86, v[16:19] offset:4992
	ds_store_b128 v86, v[24:27] offset:7488
	;; [unrolled: 1-line block ×12, first 2 shown]
	ds_store_b128 v86, v[4:7]
	global_wb scope:SCOPE_SE
	s_wait_dscnt 0x0
	s_barrier_signal -1
	s_barrier_wait -1
	global_inv scope:SCOPE_SE
	ds_load_b128 v[4:7], v86
	v_lshlrev_b32_e32 v0, 4, v66
                                        ; implicit-def: $vgpr2_vgpr3
	s_delay_alu instid0(VALU_DEP_1)
	v_sub_nc_u32_e32 v12, 0, v0
	v_cmpx_ne_u32_e32 0, v66
	s_wait_alu 0xfffe
	s_xor_b32 s1, exec_lo, s1
	s_cbranch_execz .LBB0_23
; %bb.22:
	v_mov_b32_e32 v67, 0
	s_delay_alu instid0(VALU_DEP_1) | instskip(NEXT) | instid1(VALU_DEP_1)
	v_lshlrev_b64_e32 v[0:1], 4, v[66:67]
	v_add_co_u32 v0, s0, s8, v0
	s_wait_alu 0xf1ff
	s_delay_alu instid0(VALU_DEP_2)
	v_add_co_ci_u32_e64 v1, s0, s9, v1, s0
	global_load_b128 v[8:11], v[0:1], off offset:32240
	ds_load_b128 v[0:3], v12 offset:32448
	s_wait_dscnt 0x0
	v_add_f64_e64 v[13:14], v[4:5], -v[0:1]
	v_add_f64_e32 v[15:16], v[6:7], v[2:3]
	v_add_f64_e64 v[2:3], v[6:7], -v[2:3]
	v_add_f64_e32 v[0:1], v[4:5], v[0:1]
	s_delay_alu instid0(VALU_DEP_4) | instskip(NEXT) | instid1(VALU_DEP_4)
	v_mul_f64_e32 v[6:7], 0.5, v[13:14]
	v_mul_f64_e32 v[4:5], 0.5, v[15:16]
	s_delay_alu instid0(VALU_DEP_4) | instskip(SKIP_1) | instid1(VALU_DEP_3)
	v_mul_f64_e32 v[2:3], 0.5, v[2:3]
	s_wait_loadcnt 0x0
	v_mul_f64_e32 v[13:14], v[6:7], v[10:11]
	s_delay_alu instid0(VALU_DEP_2) | instskip(SKIP_1) | instid1(VALU_DEP_3)
	v_fma_f64 v[15:16], v[4:5], v[10:11], v[2:3]
	v_fma_f64 v[2:3], v[4:5], v[10:11], -v[2:3]
	v_fma_f64 v[17:18], v[0:1], 0.5, v[13:14]
	v_fma_f64 v[0:1], v[0:1], 0.5, -v[13:14]
	s_delay_alu instid0(VALU_DEP_4) | instskip(NEXT) | instid1(VALU_DEP_4)
	v_fma_f64 v[10:11], -v[8:9], v[6:7], v[15:16]
	v_fma_f64 v[2:3], -v[8:9], v[6:7], v[2:3]
	s_delay_alu instid0(VALU_DEP_4) | instskip(NEXT) | instid1(VALU_DEP_4)
	v_fma_f64 v[13:14], v[4:5], v[8:9], v[17:18]
	v_fma_f64 v[0:1], -v[4:5], v[8:9], v[0:1]
	v_dual_mov_b32 v8, v66 :: v_dual_mov_b32 v9, v67
                                        ; implicit-def: $vgpr4_vgpr5
	ds_store_b64 v86, v[13:14]
.LBB0_23:
	s_wait_alu 0xfffe
	s_and_not1_saveexec_b32 s0, s1
	s_cbranch_execz .LBB0_25
; %bb.24:
	s_wait_dscnt 0x0
	v_add_f64_e32 v[13:14], v[4:5], v[6:7]
	v_add_f64_e64 v[0:1], v[4:5], -v[6:7]
	v_mov_b32_e32 v6, 0
	v_mov_b32_e32 v10, 0
	v_dual_mov_b32 v11, 0 :: v_dual_mov_b32 v8, 0
	s_delay_alu instid0(VALU_DEP_2)
	v_mov_b32_e32 v2, v10
	ds_load_b64 v[4:5], v6 offset:16232
	v_mov_b32_e32 v9, 0
	v_mov_b32_e32 v3, v11
	s_wait_dscnt 0x0
	v_xor_b32_e32 v5, 0x80000000, v5
	ds_store_b64 v86, v[13:14]
	ds_store_b64 v6, v[4:5] offset:16232
.LBB0_25:
	s_wait_alu 0xfffe
	s_or_b32 exec_lo, exec_lo, s0
	v_mov_b32_e32 v72, 0
	s_wait_dscnt 0x0
	s_delay_alu instid0(VALU_DEP_1) | instskip(SKIP_1) | instid1(VALU_DEP_1)
	v_lshlrev_b64_e32 v[4:5], 4, v[71:72]
	v_dual_mov_b32 v74, v72 :: v_dual_mov_b32 v71, v72
	v_lshlrev_b64_e32 v[13:14], 4, v[73:74]
	s_delay_alu instid0(VALU_DEP_3) | instskip(SKIP_1) | instid1(VALU_DEP_4)
	v_add_co_u32 v4, s0, s8, v4
	s_wait_alu 0xf1ff
	v_add_co_ci_u32_e64 v5, s0, s9, v5, s0
	s_delay_alu instid0(VALU_DEP_3)
	v_add_co_u32 v13, s0, s8, v13
	global_load_b128 v[4:7], v[4:5], off offset:32240
	s_wait_alu 0xf1ff
	v_add_co_ci_u32_e64 v14, s0, s9, v14, s0
	global_load_b128 v[13:16], v[13:14], off offset:32240
	ds_store_b64 v86, v[10:11] offset:8
	ds_store_b128 v12, v[0:3] offset:32448
	ds_load_b128 v[0:3], v89
	ds_load_b128 v[17:20], v12 offset:29952
	s_wait_dscnt 0x0
	v_add_f64_e64 v[10:11], v[0:1], -v[17:18]
	v_add_f64_e32 v[21:22], v[2:3], v[19:20]
	v_add_f64_e64 v[2:3], v[2:3], -v[19:20]
	v_add_f64_e32 v[0:1], v[0:1], v[17:18]
	s_delay_alu instid0(VALU_DEP_4) | instskip(NEXT) | instid1(VALU_DEP_4)
	v_mul_f64_e32 v[10:11], 0.5, v[10:11]
	v_mul_f64_e32 v[19:20], 0.5, v[21:22]
	s_delay_alu instid0(VALU_DEP_4) | instskip(SKIP_1) | instid1(VALU_DEP_3)
	v_mul_f64_e32 v[2:3], 0.5, v[2:3]
	s_wait_loadcnt 0x1
	v_mul_f64_e32 v[17:18], v[10:11], v[6:7]
	s_delay_alu instid0(VALU_DEP_2) | instskip(SKIP_1) | instid1(VALU_DEP_3)
	v_fma_f64 v[21:22], v[19:20], v[6:7], v[2:3]
	v_fma_f64 v[6:7], v[19:20], v[6:7], -v[2:3]
	v_fma_f64 v[23:24], v[0:1], 0.5, v[17:18]
	v_fma_f64 v[17:18], v[0:1], 0.5, -v[17:18]
	s_delay_alu instid0(VALU_DEP_4) | instskip(NEXT) | instid1(VALU_DEP_4)
	v_fma_f64 v[2:3], -v[4:5], v[10:11], v[21:22]
	v_fma_f64 v[6:7], -v[4:5], v[10:11], v[6:7]
	v_lshlrev_b64_e32 v[10:11], 4, v[70:71]
	s_delay_alu instid0(VALU_DEP_1) | instskip(SKIP_1) | instid1(VALU_DEP_2)
	v_add_co_u32 v10, s0, s8, v10
	s_wait_alu 0xf1ff
	v_add_co_ci_u32_e64 v11, s0, s9, v11, s0
	s_add_nc_u64 s[0:1], s[8:9], 0x7df0
	v_fma_f64 v[0:1], v[19:20], v[4:5], v[23:24]
	v_fma_f64 v[4:5], -v[19:20], v[4:5], v[17:18]
	global_load_b128 v[17:20], v[10:11], off offset:32240
	ds_store_b128 v89, v[0:3]
	ds_store_b128 v12, v[4:7] offset:29952
	scratch_load_b32 v25, off, off offset:4 th:TH_LOAD_LU ; 4-byte Folded Reload
	s_wait_loadcnt 0x0
	ds_load_b128 v[0:3], v25
	ds_load_b128 v[4:7], v12 offset:27456
	s_wait_dscnt 0x0
	v_add_f64_e64 v[10:11], v[0:1], -v[4:5]
	v_add_f64_e32 v[21:22], v[2:3], v[6:7]
	v_add_f64_e64 v[2:3], v[2:3], -v[6:7]
	v_add_f64_e32 v[0:1], v[0:1], v[4:5]
	s_delay_alu instid0(VALU_DEP_4) | instskip(NEXT) | instid1(VALU_DEP_4)
	v_mul_f64_e32 v[6:7], 0.5, v[10:11]
	v_mul_f64_e32 v[10:11], 0.5, v[21:22]
	s_delay_alu instid0(VALU_DEP_4) | instskip(NEXT) | instid1(VALU_DEP_3)
	v_mul_f64_e32 v[2:3], 0.5, v[2:3]
	v_mul_f64_e32 v[4:5], v[6:7], v[15:16]
	s_delay_alu instid0(VALU_DEP_2) | instskip(SKIP_1) | instid1(VALU_DEP_3)
	v_fma_f64 v[21:22], v[10:11], v[15:16], v[2:3]
	v_fma_f64 v[2:3], v[10:11], v[15:16], -v[2:3]
	v_fma_f64 v[23:24], v[0:1], 0.5, v[4:5]
	v_fma_f64 v[0:1], v[0:1], 0.5, -v[4:5]
	s_delay_alu instid0(VALU_DEP_4) | instskip(NEXT) | instid1(VALU_DEP_4)
	v_fma_f64 v[4:5], -v[13:14], v[6:7], v[21:22]
	v_fma_f64 v[15:16], -v[13:14], v[6:7], v[2:3]
	s_delay_alu instid0(VALU_DEP_4) | instskip(NEXT) | instid1(VALU_DEP_4)
	v_fma_f64 v[2:3], v[10:11], v[13:14], v[23:24]
	v_fma_f64 v[13:14], -v[10:11], v[13:14], v[0:1]
	v_lshlrev_b64_e32 v[0:1], 4, v[8:9]
	s_wait_alu 0xfffe
	s_delay_alu instid0(VALU_DEP_1) | instskip(SKIP_1) | instid1(VALU_DEP_2)
	v_add_co_u32 v0, s0, s0, v0
	s_wait_alu 0xf1ff
	v_add_co_ci_u32_e64 v1, s0, s1, v1, s0
	s_mov_b32 s1, exec_lo
	global_load_b128 v[6:9], v[0:1], off offset:9984
	ds_store_b128 v25, v[2:5]
	ds_store_b128 v12, v[13:16] offset:27456
	scratch_load_b32 v25, off, off th:TH_LOAD_LU ; 4-byte Folded Reload
	s_wait_loadcnt 0x0
	ds_load_b128 v[2:5], v25
	ds_load_b128 v[13:16], v12 offset:24960
	s_wait_dscnt 0x0
	v_add_f64_e64 v[10:11], v[2:3], -v[13:14]
	v_add_f64_e32 v[21:22], v[4:5], v[15:16]
	v_add_f64_e64 v[4:5], v[4:5], -v[15:16]
	v_add_f64_e32 v[2:3], v[2:3], v[13:14]
	s_delay_alu instid0(VALU_DEP_4) | instskip(NEXT) | instid1(VALU_DEP_4)
	v_mul_f64_e32 v[10:11], 0.5, v[10:11]
	v_mul_f64_e32 v[21:22], 0.5, v[21:22]
	s_delay_alu instid0(VALU_DEP_4) | instskip(NEXT) | instid1(VALU_DEP_3)
	v_mul_f64_e32 v[4:5], 0.5, v[4:5]
	v_mul_f64_e32 v[13:14], v[10:11], v[19:20]
	s_delay_alu instid0(VALU_DEP_2) | instskip(SKIP_1) | instid1(VALU_DEP_3)
	v_fma_f64 v[15:16], v[21:22], v[19:20], v[4:5]
	v_fma_f64 v[19:20], v[21:22], v[19:20], -v[4:5]
	v_fma_f64 v[23:24], v[2:3], 0.5, v[13:14]
	v_fma_f64 v[13:14], v[2:3], 0.5, -v[13:14]
	s_delay_alu instid0(VALU_DEP_4) | instskip(NEXT) | instid1(VALU_DEP_4)
	v_fma_f64 v[4:5], -v[17:18], v[10:11], v[15:16]
	v_fma_f64 v[15:16], -v[17:18], v[10:11], v[19:20]
	s_delay_alu instid0(VALU_DEP_4) | instskip(NEXT) | instid1(VALU_DEP_4)
	v_fma_f64 v[2:3], v[21:22], v[17:18], v[23:24]
	v_fma_f64 v[13:14], -v[21:22], v[17:18], v[13:14]
	global_load_b128 v[17:20], v[0:1], off offset:12480
	ds_store_b128 v25, v[2:5]
	ds_store_b128 v12, v[13:16] offset:24960
	ds_load_b128 v[2:5], v86 offset:9984
	ds_load_b128 v[13:16], v12 offset:22464
	s_wait_dscnt 0x0
	v_add_f64_e64 v[10:11], v[2:3], -v[13:14]
	v_add_f64_e32 v[21:22], v[4:5], v[15:16]
	v_add_f64_e64 v[4:5], v[4:5], -v[15:16]
	v_add_f64_e32 v[2:3], v[2:3], v[13:14]
	s_delay_alu instid0(VALU_DEP_4) | instskip(NEXT) | instid1(VALU_DEP_4)
	v_mul_f64_e32 v[10:11], 0.5, v[10:11]
	v_mul_f64_e32 v[15:16], 0.5, v[21:22]
	s_delay_alu instid0(VALU_DEP_4) | instskip(NEXT) | instid1(VALU_DEP_3)
	v_mul_f64_e32 v[4:5], 0.5, v[4:5]
	v_mul_f64_e32 v[13:14], v[10:11], v[8:9]
	s_delay_alu instid0(VALU_DEP_2) | instskip(SKIP_1) | instid1(VALU_DEP_3)
	v_fma_f64 v[21:22], v[15:16], v[8:9], v[4:5]
	v_fma_f64 v[8:9], v[15:16], v[8:9], -v[4:5]
	v_fma_f64 v[23:24], v[2:3], 0.5, v[13:14]
	v_fma_f64 v[13:14], v[2:3], 0.5, -v[13:14]
	s_delay_alu instid0(VALU_DEP_4) | instskip(NEXT) | instid1(VALU_DEP_4)
	v_fma_f64 v[4:5], -v[6:7], v[10:11], v[21:22]
	v_fma_f64 v[8:9], -v[6:7], v[10:11], v[8:9]
	s_delay_alu instid0(VALU_DEP_4) | instskip(NEXT) | instid1(VALU_DEP_4)
	v_fma_f64 v[2:3], v[15:16], v[6:7], v[23:24]
	v_fma_f64 v[6:7], -v[15:16], v[6:7], v[13:14]
	ds_store_b128 v86, v[2:5] offset:9984
	ds_store_b128 v12, v[6:9] offset:22464
	ds_load_b128 v[2:5], v86 offset:12480
	ds_load_b128 v[6:9], v12 offset:19968
	s_wait_dscnt 0x0
	v_add_f64_e64 v[10:11], v[2:3], -v[6:7]
	v_add_f64_e32 v[13:14], v[4:5], v[8:9]
	v_add_f64_e64 v[4:5], v[4:5], -v[8:9]
	v_add_f64_e32 v[2:3], v[2:3], v[6:7]
	s_delay_alu instid0(VALU_DEP_4) | instskip(NEXT) | instid1(VALU_DEP_4)
	v_mul_f64_e32 v[8:9], 0.5, v[10:11]
	v_mul_f64_e32 v[10:11], 0.5, v[13:14]
	s_delay_alu instid0(VALU_DEP_4) | instskip(SKIP_1) | instid1(VALU_DEP_3)
	v_mul_f64_e32 v[4:5], 0.5, v[4:5]
	s_wait_loadcnt 0x0
	v_mul_f64_e32 v[6:7], v[8:9], v[19:20]
	s_delay_alu instid0(VALU_DEP_2) | instskip(SKIP_1) | instid1(VALU_DEP_3)
	v_fma_f64 v[13:14], v[10:11], v[19:20], v[4:5]
	v_fma_f64 v[15:16], v[10:11], v[19:20], -v[4:5]
	v_fma_f64 v[19:20], v[2:3], 0.5, v[6:7]
	v_fma_f64 v[6:7], v[2:3], 0.5, -v[6:7]
	s_delay_alu instid0(VALU_DEP_4) | instskip(NEXT) | instid1(VALU_DEP_4)
	v_fma_f64 v[4:5], -v[17:18], v[8:9], v[13:14]
	v_fma_f64 v[8:9], -v[17:18], v[8:9], v[15:16]
	s_delay_alu instid0(VALU_DEP_4) | instskip(NEXT) | instid1(VALU_DEP_4)
	v_fma_f64 v[2:3], v[10:11], v[17:18], v[19:20]
	v_fma_f64 v[6:7], -v[10:11], v[17:18], v[6:7]
	ds_store_b128 v86, v[2:5] offset:12480
	ds_store_b128 v12, v[6:9] offset:19968
	v_cmpx_gt_u32_e32 0x4e, v66
	s_cbranch_execz .LBB0_27
; %bb.26:
	global_load_b128 v[0:3], v[0:1], off offset:14976
	ds_load_b128 v[4:7], v86 offset:14976
	ds_load_b128 v[8:11], v12 offset:17472
	s_wait_dscnt 0x0
	v_add_f64_e64 v[13:14], v[4:5], -v[8:9]
	v_add_f64_e32 v[15:16], v[6:7], v[10:11]
	v_add_f64_e64 v[6:7], v[6:7], -v[10:11]
	v_add_f64_e32 v[4:5], v[4:5], v[8:9]
	s_delay_alu instid0(VALU_DEP_4) | instskip(NEXT) | instid1(VALU_DEP_4)
	v_mul_f64_e32 v[10:11], 0.5, v[13:14]
	v_mul_f64_e32 v[13:14], 0.5, v[15:16]
	s_delay_alu instid0(VALU_DEP_4) | instskip(SKIP_1) | instid1(VALU_DEP_3)
	v_mul_f64_e32 v[6:7], 0.5, v[6:7]
	s_wait_loadcnt 0x0
	v_mul_f64_e32 v[8:9], v[10:11], v[2:3]
	s_delay_alu instid0(VALU_DEP_2) | instskip(SKIP_1) | instid1(VALU_DEP_3)
	v_fma_f64 v[15:16], v[13:14], v[2:3], v[6:7]
	v_fma_f64 v[2:3], v[13:14], v[2:3], -v[6:7]
	v_fma_f64 v[6:7], v[4:5], 0.5, v[8:9]
	v_fma_f64 v[17:18], v[4:5], 0.5, -v[8:9]
	s_delay_alu instid0(VALU_DEP_4) | instskip(NEXT) | instid1(VALU_DEP_4)
	v_fma_f64 v[4:5], -v[0:1], v[10:11], v[15:16]
	v_fma_f64 v[8:9], -v[0:1], v[10:11], v[2:3]
	s_delay_alu instid0(VALU_DEP_4) | instskip(NEXT) | instid1(VALU_DEP_4)
	v_fma_f64 v[2:3], v[13:14], v[0:1], v[6:7]
	v_fma_f64 v[6:7], -v[13:14], v[0:1], v[17:18]
	ds_store_b128 v86, v[2:5] offset:14976
	ds_store_b128 v12, v[6:9] offset:17472
.LBB0_27:
	s_wait_alu 0xfffe
	s_or_b32 exec_lo, exec_lo, s1
	global_wb scope:SCOPE_SE
	s_wait_dscnt 0x0
	s_barrier_signal -1
	s_barrier_wait -1
	global_inv scope:SCOPE_SE
	s_and_saveexec_b32 s0, vcc_lo
	s_cbranch_execz .LBB0_30
; %bb.28:
	v_mul_lo_u32 v2, s3, v68
	v_mul_lo_u32 v3, s2, v69
	v_mad_co_u64_u32 v[0:1], null, s2, v68, 0
	v_dual_mov_b32 v67, 0 :: v_dual_add_nc_u32 v12, 0x9c, v66
	v_lshlrev_b64_e32 v[10:11], 4, v[64:65]
	v_lshl_add_u32 v31, v66, 4, 0
	s_delay_alu instid0(VALU_DEP_3)
	v_dual_mov_b32 v13, v67 :: v_dual_add_nc_u32 v14, 0x138, v66
	v_add3_u32 v1, v1, v3, v2
	v_lshlrev_b64_e32 v[16:17], 4, v[66:67]
	v_dual_mov_b32 v15, v67 :: v_dual_add_nc_u32 v24, 0x1d4, v66
	ds_load_b128 v[2:5], v31
	ds_load_b128 v[6:9], v31 offset:2496
	v_lshlrev_b64_e32 v[0:1], 4, v[0:1]
	v_lshlrev_b64_e32 v[18:19], 4, v[12:13]
	;; [unrolled: 1-line block ×3, first 2 shown]
	v_dual_mov_b32 v25, v67 :: v_dual_add_nc_u32 v26, 0x270, v66
	v_mov_b32_e32 v27, v67
	v_add_co_u32 v0, vcc_lo, s6, v0
	s_wait_alu 0xfffd
	v_add_co_ci_u32_e32 v1, vcc_lo, s7, v1, vcc_lo
	v_lshlrev_b64_e32 v[24:25], 4, v[24:25]
	s_delay_alu instid0(VALU_DEP_3) | instskip(SKIP_1) | instid1(VALU_DEP_3)
	v_add_co_u32 v0, vcc_lo, v0, v10
	s_wait_alu 0xfffd
	v_add_co_ci_u32_e32 v1, vcc_lo, v1, v11, vcc_lo
	v_add_nc_u32_e32 v30, 0x750, v66
	s_delay_alu instid0(VALU_DEP_3) | instskip(SKIP_1) | instid1(VALU_DEP_3)
	v_add_co_u32 v22, vcc_lo, v0, v16
	s_wait_alu 0xfffd
	v_add_co_ci_u32_e32 v23, vcc_lo, v1, v17, vcc_lo
	ds_load_b128 v[10:13], v31 offset:4992
	ds_load_b128 v[14:17], v31 offset:7488
	v_add_co_u32 v18, vcc_lo, v0, v18
	s_wait_alu 0xfffd
	v_add_co_ci_u32_e32 v19, vcc_lo, v1, v19, vcc_lo
	v_add_co_u32 v20, vcc_lo, v0, v20
	s_wait_alu 0xfffd
	v_add_co_ci_u32_e32 v21, vcc_lo, v1, v21, vcc_lo
	;; [unrolled: 3-line block ×3, first 2 shown]
	s_wait_dscnt 0x3
	global_store_b128 v[22:23], v[2:5], off
	s_wait_dscnt 0x2
	global_store_b128 v[18:19], v[6:9], off
	;; [unrolled: 2-line block ×4, first 2 shown]
	v_add_nc_u32_e32 v10, 0x30c, v66
	v_lshlrev_b64_e32 v[2:3], 4, v[26:27]
	v_dual_mov_b32 v11, v67 :: v_dual_add_nc_u32 v12, 0x3a8, v66
	v_dual_mov_b32 v13, v67 :: v_dual_add_nc_u32 v24, 0x444, v66
	;; [unrolled: 1-line block ×3, first 2 shown]
	s_delay_alu instid0(VALU_DEP_4)
	v_add_co_u32 v18, vcc_lo, v0, v2
	s_wait_alu 0xfffd
	v_add_co_ci_u32_e32 v19, vcc_lo, v1, v3, vcc_lo
	ds_load_b128 v[2:5], v31 offset:9984
	ds_load_b128 v[6:9], v31 offset:12480
	v_lshlrev_b64_e32 v[20:21], 4, v[10:11]
	v_lshlrev_b64_e32 v[22:23], 4, v[12:13]
	ds_load_b128 v[10:13], v31 offset:14976
	ds_load_b128 v[14:17], v31 offset:17472
	v_lshlrev_b64_e32 v[24:25], 4, v[24:25]
	v_add_co_u32 v20, vcc_lo, v0, v20
	s_wait_alu 0xfffd
	v_add_co_ci_u32_e32 v21, vcc_lo, v1, v21, vcc_lo
	v_add_co_u32 v22, vcc_lo, v0, v22
	s_wait_alu 0xfffd
	v_add_co_ci_u32_e32 v23, vcc_lo, v1, v23, vcc_lo
	;; [unrolled: 3-line block ×3, first 2 shown]
	s_wait_dscnt 0x3
	global_store_b128 v[18:19], v[2:5], off
	s_wait_dscnt 0x2
	global_store_b128 v[20:21], v[6:9], off
	;; [unrolled: 2-line block ×4, first 2 shown]
	v_dual_mov_b32 v11, v67 :: v_dual_add_nc_u32 v10, 0x57c, v66
	v_lshlrev_b64_e32 v[2:3], 4, v[26:27]
	v_dual_mov_b32 v13, v67 :: v_dual_add_nc_u32 v12, 0x618, v66
	v_dual_mov_b32 v19, v67 :: v_dual_add_nc_u32 v18, 0x6b4, v66
	s_delay_alu instid0(VALU_DEP_4) | instskip(NEXT) | instid1(VALU_DEP_4)
	v_lshlrev_b64_e32 v[10:11], 4, v[10:11]
	v_add_co_u32 v22, vcc_lo, v0, v2
	s_wait_alu 0xfffd
	v_add_co_ci_u32_e32 v23, vcc_lo, v1, v3, vcc_lo
	ds_load_b128 v[2:5], v31 offset:19968
	ds_load_b128 v[6:9], v31 offset:22464
	v_add_co_u32 v24, vcc_lo, v0, v10
	s_wait_alu 0xfffd
	v_add_co_ci_u32_e32 v25, vcc_lo, v1, v11, vcc_lo
	v_lshlrev_b64_e32 v[26:27], 4, v[12:13]
	ds_load_b128 v[10:13], v31 offset:24960
	ds_load_b128 v[14:17], v31 offset:27456
	v_lshlrev_b64_e32 v[28:29], 4, v[18:19]
	ds_load_b128 v[18:21], v31 offset:29952
	v_mov_b32_e32 v31, v67
	v_add_co_u32 v26, vcc_lo, v0, v26
	s_wait_alu 0xfffd
	v_add_co_ci_u32_e32 v27, vcc_lo, v1, v27, vcc_lo
	s_delay_alu instid0(VALU_DEP_3) | instskip(SKIP_3) | instid1(VALU_DEP_3)
	v_lshlrev_b64_e32 v[30:31], 4, v[30:31]
	v_add_co_u32 v28, vcc_lo, v0, v28
	s_wait_alu 0xfffd
	v_add_co_ci_u32_e32 v29, vcc_lo, v1, v29, vcc_lo
	v_add_co_u32 v30, vcc_lo, v0, v30
	s_wait_alu 0xfffd
	v_add_co_ci_u32_e32 v31, vcc_lo, v1, v31, vcc_lo
	v_cmp_eq_u32_e32 vcc_lo, 0x9b, v66
	s_wait_dscnt 0x4
	global_store_b128 v[22:23], v[2:5], off
	s_wait_dscnt 0x3
	global_store_b128 v[24:25], v[6:9], off
	;; [unrolled: 2-line block ×5, first 2 shown]
	s_and_b32 exec_lo, exec_lo, vcc_lo
	s_cbranch_execz .LBB0_30
; %bb.29:
	ds_load_b128 v[2:5], v67 offset:32448
	s_wait_dscnt 0x0
	global_store_b128 v[0:1], v[2:5], off offset:32448
.LBB0_30:
	s_nop 0
	s_sendmsg sendmsg(MSG_DEALLOC_VGPRS)
	s_endpgm
	.section	.rodata,"a",@progbits
	.p2align	6, 0x0
	.amdhsa_kernel fft_rtc_fwd_len2028_factors_13_4_3_13_wgs_156_tpt_156_dp_op_CI_CI_unitstride_sbrr_R2C_dirReg
		.amdhsa_group_segment_fixed_size 0
		.amdhsa_private_segment_fixed_size 20
		.amdhsa_kernarg_size 104
		.amdhsa_user_sgpr_count 2
		.amdhsa_user_sgpr_dispatch_ptr 0
		.amdhsa_user_sgpr_queue_ptr 0
		.amdhsa_user_sgpr_kernarg_segment_ptr 1
		.amdhsa_user_sgpr_dispatch_id 0
		.amdhsa_user_sgpr_private_segment_size 0
		.amdhsa_wavefront_size32 1
		.amdhsa_uses_dynamic_stack 0
		.amdhsa_enable_private_segment 1
		.amdhsa_system_sgpr_workgroup_id_x 1
		.amdhsa_system_sgpr_workgroup_id_y 0
		.amdhsa_system_sgpr_workgroup_id_z 0
		.amdhsa_system_sgpr_workgroup_info 0
		.amdhsa_system_vgpr_workitem_id 0
		.amdhsa_next_free_vgpr 256
		.amdhsa_next_free_sgpr 42
		.amdhsa_reserve_vcc 1
		.amdhsa_float_round_mode_32 0
		.amdhsa_float_round_mode_16_64 0
		.amdhsa_float_denorm_mode_32 3
		.amdhsa_float_denorm_mode_16_64 3
		.amdhsa_fp16_overflow 0
		.amdhsa_workgroup_processor_mode 1
		.amdhsa_memory_ordered 1
		.amdhsa_forward_progress 0
		.amdhsa_round_robin_scheduling 0
		.amdhsa_exception_fp_ieee_invalid_op 0
		.amdhsa_exception_fp_denorm_src 0
		.amdhsa_exception_fp_ieee_div_zero 0
		.amdhsa_exception_fp_ieee_overflow 0
		.amdhsa_exception_fp_ieee_underflow 0
		.amdhsa_exception_fp_ieee_inexact 0
		.amdhsa_exception_int_div_zero 0
	.end_amdhsa_kernel
	.text
.Lfunc_end0:
	.size	fft_rtc_fwd_len2028_factors_13_4_3_13_wgs_156_tpt_156_dp_op_CI_CI_unitstride_sbrr_R2C_dirReg, .Lfunc_end0-fft_rtc_fwd_len2028_factors_13_4_3_13_wgs_156_tpt_156_dp_op_CI_CI_unitstride_sbrr_R2C_dirReg
                                        ; -- End function
	.section	.AMDGPU.csdata,"",@progbits
; Kernel info:
; codeLenInByte = 13828
; NumSgprs: 44
; NumVgprs: 256
; ScratchSize: 20
; MemoryBound: 0
; FloatMode: 240
; IeeeMode: 1
; LDSByteSize: 0 bytes/workgroup (compile time only)
; SGPRBlocks: 5
; VGPRBlocks: 31
; NumSGPRsForWavesPerEU: 44
; NumVGPRsForWavesPerEU: 256
; Occupancy: 5
; WaveLimiterHint : 1
; COMPUTE_PGM_RSRC2:SCRATCH_EN: 1
; COMPUTE_PGM_RSRC2:USER_SGPR: 2
; COMPUTE_PGM_RSRC2:TRAP_HANDLER: 0
; COMPUTE_PGM_RSRC2:TGID_X_EN: 1
; COMPUTE_PGM_RSRC2:TGID_Y_EN: 0
; COMPUTE_PGM_RSRC2:TGID_Z_EN: 0
; COMPUTE_PGM_RSRC2:TIDIG_COMP_CNT: 0
	.text
	.p2alignl 7, 3214868480
	.fill 96, 4, 3214868480
	.type	__hip_cuid_aa1f62da2ca0946f,@object ; @__hip_cuid_aa1f62da2ca0946f
	.section	.bss,"aw",@nobits
	.globl	__hip_cuid_aa1f62da2ca0946f
__hip_cuid_aa1f62da2ca0946f:
	.byte	0                               ; 0x0
	.size	__hip_cuid_aa1f62da2ca0946f, 1

	.ident	"AMD clang version 19.0.0git (https://github.com/RadeonOpenCompute/llvm-project roc-6.4.0 25133 c7fe45cf4b819c5991fe208aaa96edf142730f1d)"
	.section	".note.GNU-stack","",@progbits
	.addrsig
	.addrsig_sym __hip_cuid_aa1f62da2ca0946f
	.amdgpu_metadata
---
amdhsa.kernels:
  - .args:
      - .actual_access:  read_only
        .address_space:  global
        .offset:         0
        .size:           8
        .value_kind:     global_buffer
      - .offset:         8
        .size:           8
        .value_kind:     by_value
      - .actual_access:  read_only
        .address_space:  global
        .offset:         16
        .size:           8
        .value_kind:     global_buffer
      - .actual_access:  read_only
        .address_space:  global
        .offset:         24
        .size:           8
        .value_kind:     global_buffer
      - .actual_access:  read_only
        .address_space:  global
        .offset:         32
        .size:           8
        .value_kind:     global_buffer
      - .offset:         40
        .size:           8
        .value_kind:     by_value
      - .actual_access:  read_only
        .address_space:  global
        .offset:         48
        .size:           8
        .value_kind:     global_buffer
      - .actual_access:  read_only
        .address_space:  global
        .offset:         56
        .size:           8
        .value_kind:     global_buffer
      - .offset:         64
        .size:           4
        .value_kind:     by_value
      - .actual_access:  read_only
        .address_space:  global
        .offset:         72
        .size:           8
        .value_kind:     global_buffer
      - .actual_access:  read_only
        .address_space:  global
        .offset:         80
        .size:           8
        .value_kind:     global_buffer
      - .actual_access:  read_only
        .address_space:  global
        .offset:         88
        .size:           8
        .value_kind:     global_buffer
      - .actual_access:  write_only
        .address_space:  global
        .offset:         96
        .size:           8
        .value_kind:     global_buffer
    .group_segment_fixed_size: 0
    .kernarg_segment_align: 8
    .kernarg_segment_size: 104
    .language:       OpenCL C
    .language_version:
      - 2
      - 0
    .max_flat_workgroup_size: 156
    .name:           fft_rtc_fwd_len2028_factors_13_4_3_13_wgs_156_tpt_156_dp_op_CI_CI_unitstride_sbrr_R2C_dirReg
    .private_segment_fixed_size: 20
    .sgpr_count:     44
    .sgpr_spill_count: 0
    .symbol:         fft_rtc_fwd_len2028_factors_13_4_3_13_wgs_156_tpt_156_dp_op_CI_CI_unitstride_sbrr_R2C_dirReg.kd
    .uniform_work_group_size: 1
    .uses_dynamic_stack: false
    .vgpr_count:     256
    .vgpr_spill_count: 4
    .wavefront_size: 32
    .workgroup_processor_mode: 1
amdhsa.target:   amdgcn-amd-amdhsa--gfx1201
amdhsa.version:
  - 1
  - 2
...

	.end_amdgpu_metadata
